;; amdgpu-corpus repo=ggml-org/llama.cpp kind=compiled arch=gfx1250 opt=O3
	.amdgcn_target "amdgcn-amd-amdhsa--gfx1250"
	.amdhsa_code_object_version 6
	.section	.text._ZL13conv2d_kernelI6__half11whcn_layoutEvPKfPKT_Pf11conv_params,"axG",@progbits,_ZL13conv2d_kernelI6__half11whcn_layoutEvPKfPKT_Pf11conv_params,comdat
	.globl	_ZL13conv2d_kernelI6__half11whcn_layoutEvPKfPKT_Pf11conv_params ; -- Begin function _ZL13conv2d_kernelI6__half11whcn_layoutEvPKfPKT_Pf11conv_params
	.p2align	8
	.type	_ZL13conv2d_kernelI6__half11whcn_layoutEvPKfPKT_Pf11conv_params,@function
_ZL13conv2d_kernelI6__half11whcn_layoutEvPKfPKT_Pf11conv_params: ; @_ZL13conv2d_kernelI6__half11whcn_layoutEvPKfPKT_Pf11conv_params
; %bb.0:
	s_clause 0x1
	s_load_b32 s4, s[0:1], 0xa4
	s_load_b64 s[2:3], s[0:1], 0x90
	s_bfe_u32 s5, ttmp6, 0x4000c
	s_and_b32 s6, ttmp6, 15
	s_add_co_i32 s5, s5, 1
	s_getreg_b32 s7, hwreg(HW_REG_IB_STS2, 6, 4)
	s_mul_i32 s5, ttmp9, s5
	v_mov_b32_e32 v7, 0
	s_add_co_i32 s6, s6, s5
	s_wait_kmcnt 0x0
	s_and_b32 s4, s4, 0xffff
	s_cmp_eq_u32 s7, 0
	s_cselect_b32 s5, ttmp9, s6
	s_delay_alu instid0(SALU_CYCLE_1) | instskip(NEXT) | instid1(VALU_DEP_1)
	v_mad_u32 v6, s5, s4, v0
	v_cmp_gt_i64_e32 vcc_lo, s[2:3], v[6:7]
	s_and_saveexec_b32 s2, vcc_lo
	s_cbranch_execz .LBB0_50
; %bb.1:
	s_add_nc_u64 s[34:35], s[0:1], 24
	v_add_nc_u64_e32 v[4:5], 0, v[6:7]
	s_load_b512 s[4:19], s[34:35], 0x0
	s_wait_kmcnt 0x0
	s_and_b64 s[2:3], s[8:9], 0xffffffff00000000
	s_delay_alu instid0(SALU_CYCLE_1)
	s_cmp_lg_u64 s[2:3], 0
	s_cbranch_scc0 .LBB0_45
; %bb.2:
	s_ashr_i32 s20, s9, 31
	v_dual_mov_b32 v1, 0 :: v_dual_mov_b32 v0, v4
	s_mov_b32 s21, s20
	s_delay_alu instid0(SALU_CYCLE_1) | instskip(NEXT) | instid1(SALU_CYCLE_1)
	s_add_nc_u64 s[2:3], s[8:9], s[20:21]
	s_xor_b64 s[22:23], s[2:3], s[20:21]
	s_delay_alu instid0(SALU_CYCLE_1) | instskip(SKIP_2) | instid1(SALU_CYCLE_2)
	s_cvt_f32_u32 s2, s22
	s_cvt_f32_u32 s3, s23
	s_sub_nc_u64 s[26:27], 0, s[22:23]
	s_fmamk_f32 s2, s3, 0x4f800000, s2
	s_delay_alu instid0(SALU_CYCLE_3) | instskip(NEXT) | instid1(TRANS32_DEP_1)
	v_s_rcp_f32 s2, s2
	s_mul_f32 s2, s2, 0x5f7ffffc
	s_delay_alu instid0(SALU_CYCLE_3) | instskip(NEXT) | instid1(SALU_CYCLE_3)
	s_mul_f32 s3, s2, 0x2f800000
	s_trunc_f32 s3, s3
	s_delay_alu instid0(SALU_CYCLE_3) | instskip(SKIP_2) | instid1(SALU_CYCLE_1)
	s_fmamk_f32 s2, s3, 0xcf800000, s2
	s_cvt_u32_f32 s25, s3
	s_mov_b32 s3, 0
	s_cvt_u32_f32 s24, s2
	s_delay_alu instid0(SALU_CYCLE_3) | instskip(NEXT) | instid1(SALU_CYCLE_1)
	s_mul_u64 s[28:29], s[26:27], s[24:25]
	s_mul_hi_u32 s31, s24, s29
	s_mul_i32 s30, s24, s29
	s_mul_hi_u32 s2, s24, s28
	s_mul_i32 s33, s25, s28
	s_add_nc_u64 s[30:31], s[2:3], s[30:31]
	s_mul_hi_u32 s21, s25, s28
	s_mul_hi_u32 s36, s25, s29
	s_add_co_u32 s2, s30, s33
	s_add_co_ci_u32 s2, s31, s21
	s_mul_i32 s28, s25, s29
	s_add_co_ci_u32 s29, s36, 0
	s_delay_alu instid0(SALU_CYCLE_1) | instskip(NEXT) | instid1(SALU_CYCLE_1)
	s_add_nc_u64 s[28:29], s[2:3], s[28:29]
	s_add_co_u32 s24, s24, s28
	s_cselect_b32 s2, -1, 0
	s_delay_alu instid0(SALU_CYCLE_1) | instskip(SKIP_1) | instid1(SALU_CYCLE_1)
	s_cmp_lg_u32 s2, 0
	s_add_co_ci_u32 s25, s25, s29
	s_mul_u64 s[26:27], s[26:27], s[24:25]
	s_delay_alu instid0(SALU_CYCLE_1)
	s_mul_hi_u32 s29, s24, s27
	s_mul_i32 s28, s24, s27
	s_mul_hi_u32 s2, s24, s26
	s_mul_i32 s30, s25, s26
	s_add_nc_u64 s[28:29], s[2:3], s[28:29]
	s_mul_hi_u32 s21, s25, s26
	s_mul_hi_u32 s31, s25, s27
	s_add_co_u32 s2, s28, s30
	s_add_co_ci_u32 s2, s29, s21
	s_mul_i32 s26, s25, s27
	s_add_co_ci_u32 s27, s31, 0
	s_delay_alu instid0(SALU_CYCLE_1) | instskip(NEXT) | instid1(SALU_CYCLE_1)
	s_add_nc_u64 s[26:27], s[2:3], s[26:27]
	s_add_co_u32 s24, s24, s26
	s_cselect_b32 s2, -1, 0
	s_delay_alu instid0(SALU_CYCLE_1)
	s_cmp_lg_u32 s2, 0
	s_add_co_ci_u32 s2, s25, s27
	s_mov_b64 s[26:27], 0xffffffff
	v_nop
	v_mul_u64_e32 v[2:3], s[2:3], v[0:1]
	v_mul_hi_u32 v0, v4, s24
	s_and_b64 s[24:25], s[24:25], s[26:27]
	s_delay_alu instid0(VALU_DEP_1) | instskip(SKIP_1) | instid1(VALU_DEP_1)
	v_add_nc_u64_e32 v[2:3], v[0:1], v[2:3]
	v_mov_b32_e32 v0, v5
	v_mul_u64_e32 v[8:9], s[24:25], v[0:1]
	v_mul_u64_e32 v[10:11], s[2:3], v[0:1]
	s_delay_alu instid0(VALU_DEP_2) | instskip(NEXT) | instid1(VALU_DEP_3)
	v_add_co_u32 v0, vcc_lo, v2, v8
	v_add_co_ci_u32_e32 v0, vcc_lo, v3, v9, vcc_lo
	s_delay_alu instid0(VALU_DEP_3) | instskip(NEXT) | instid1(VALU_DEP_1)
	v_add_co_ci_u32_e32 v11, vcc_lo, 0, v11, vcc_lo
	v_add_nc_u64_e32 v[0:1], v[0:1], v[10:11]
	s_delay_alu instid0(VALU_DEP_1) | instskip(NEXT) | instid1(VALU_DEP_1)
	v_mul_u64_e32 v[2:3], s[22:23], v[0:1]
	v_sub_nc_u32_e32 v8, v5, v3
	s_delay_alu instid0(VALU_DEP_2) | instskip(NEXT) | instid1(VALU_DEP_1)
	v_sub_co_u32 v2, vcc_lo, v4, v2
	v_sub_co_ci_u32_e64 v13, null, v5, v3, vcc_lo
	s_delay_alu instid0(VALU_DEP_3) | instskip(NEXT) | instid1(VALU_DEP_3)
	v_subrev_co_ci_u32_e64 v8, null, s23, v8, vcc_lo
	v_sub_co_u32 v10, s2, v2, s22
	v_cmp_le_u32_e32 vcc_lo, s22, v2
	s_delay_alu instid0(VALU_DEP_3) | instskip(NEXT) | instid1(VALU_DEP_3)
	v_subrev_co_ci_u32_e64 v11, null, 0, v8, s2
	v_cmp_le_u32_e64 s2, s22, v10
	v_add_nc_u64_e32 v[8:9], 2, v[0:1]
	v_cndmask_b32_e64 v14, 0, -1, vcc_lo
	s_delay_alu instid0(VALU_DEP_4) | instskip(SKIP_3) | instid1(VALU_DEP_1)
	v_cmp_eq_u32_e32 vcc_lo, s23, v11
	v_add_nc_u64_e32 v[2:3], 1, v[0:1]
	v_cndmask_b32_e64 v10, 0, -1, s2
	v_cmp_le_u32_e64 s2, s23, v11
	v_cndmask_b32_e64 v12, 0, -1, s2
	v_cmp_eq_u32_e64 s2, s23, v13
	s_delay_alu instid0(VALU_DEP_2) | instskip(SKIP_2) | instid1(VALU_DEP_3)
	v_cndmask_b32_e32 v10, v12, v10, vcc_lo
	v_cmp_le_u32_e32 vcc_lo, s23, v13
	v_cndmask_b32_e64 v11, 0, -1, vcc_lo
	v_cmp_ne_u32_e32 vcc_lo, 0, v10
	s_delay_alu instid0(VALU_DEP_2) | instskip(SKIP_1) | instid1(VALU_DEP_2)
	v_dual_cndmask_b32 v10, v11, v14, s2 :: v_dual_cndmask_b32 v2, v2, v8, vcc_lo
	v_cndmask_b32_e32 v3, v3, v9, vcc_lo
	v_cmp_ne_u32_e32 vcc_lo, 0, v10
	s_delay_alu instid0(VALU_DEP_2) | instskip(SKIP_1) | instid1(VALU_DEP_2)
	v_dual_cndmask_b32 v3, v1, v3 :: v_dual_cndmask_b32 v2, v0, v2
	v_dual_mov_b32 v1, s20 :: v_dual_mov_b32 v0, s20
	v_xor_b32_e32 v3, s20, v3
	s_delay_alu instid0(VALU_DEP_3) | instskip(NEXT) | instid1(VALU_DEP_1)
	v_xor_b32_e32 v2, s20, v2
	v_sub_nc_u64_e32 v[8:9], v[2:3], v[0:1]
	s_cbranch_execnz .LBB0_4
.LBB0_3:
	v_cvt_f32_u32_e32 v0, s8
	s_sub_co_i32 s2, 0, s8
	v_mov_b32_e32 v9, 0
	s_delay_alu instid0(VALU_DEP_2) | instskip(SKIP_1) | instid1(TRANS32_DEP_1)
	v_rcp_iflag_f32_e32 v0, v0
	v_nop
	v_mul_f32_e32 v0, 0x4f7ffffe, v0
	s_delay_alu instid0(VALU_DEP_1) | instskip(NEXT) | instid1(VALU_DEP_1)
	v_cvt_u32_f32_e32 v0, v0
	v_mul_lo_u32 v1, s2, v0
	s_delay_alu instid0(VALU_DEP_1) | instskip(NEXT) | instid1(VALU_DEP_1)
	v_mul_hi_u32 v1, v0, v1
	v_add_nc_u32_e32 v0, v0, v1
	s_delay_alu instid0(VALU_DEP_1) | instskip(NEXT) | instid1(VALU_DEP_1)
	v_mul_hi_u32 v0, v6, v0
	v_mul_lo_u32 v1, v0, s8
	s_delay_alu instid0(VALU_DEP_1) | instskip(NEXT) | instid1(VALU_DEP_1)
	v_dual_add_nc_u32 v2, 1, v0 :: v_dual_sub_nc_u32 v1, v6, v1
	v_subrev_nc_u32_e32 v3, s8, v1
	v_cmp_le_u32_e32 vcc_lo, s8, v1
	s_delay_alu instid0(VALU_DEP_2) | instskip(NEXT) | instid1(VALU_DEP_1)
	v_dual_cndmask_b32 v1, v1, v3 :: v_dual_cndmask_b32 v0, v0, v2
	v_cmp_le_u32_e32 vcc_lo, s8, v1
	s_delay_alu instid0(VALU_DEP_2) | instskip(NEXT) | instid1(VALU_DEP_1)
	v_add_nc_u32_e32 v2, 1, v0
	v_cndmask_b32_e32 v8, v0, v2, vcc_lo
.LBB0_4:
	s_delay_alu instid0(VALU_DEP_1) | instskip(SKIP_1) | instid1(VALU_DEP_1)
	v_dual_mov_b32 v2, 0 :: v_dual_bitop2_b32 v3, s11, v9 bitop3:0x54
                                        ; implicit-def: $vgpr0_vgpr1
	s_mov_b32 s2, exec_lo
	v_cmpx_ne_u64_e32 0, v[2:3]
	s_xor_b32 s3, exec_lo, s2
	s_cbranch_execz .LBB0_6
; %bb.5:
	s_ashr_i32 s20, s11, 31
	s_mov_b32 s29, 0
	s_mov_b32 s21, s20
	v_dual_mov_b32 v13, v2 :: v_dual_ashrrev_i32 v0, 31, v9
	s_add_nc_u64 s[22:23], s[10:11], s[20:21]
	v_dual_mov_b32 v21, v2 :: v_dual_mov_b32 v3, v2
	s_xor_b64 s[20:21], s[22:23], s[20:21]
	s_delay_alu instid0(VALU_DEP_2) | instskip(SKIP_3) | instid1(VALU_DEP_1)
	v_mov_b32_e32 v1, v0
	s_cvt_f32_u32 s2, s20
	s_cvt_f32_u32 s22, s21
	s_sub_nc_u64 s[24:25], 0, s[20:21]
	v_add_nc_u64_e32 v[10:11], v[8:9], v[0:1]
	s_delay_alu instid0(SALU_CYCLE_1) | instskip(SKIP_1) | instid1(SALU_CYCLE_2)
	s_fmamk_f32 s2, s22, 0x4f800000, s2
	v_mov_b32_e32 v15, v2
	v_s_rcp_f32 s2, s2
	s_delay_alu instid0(VALU_DEP_2) | instskip(NEXT) | instid1(VALU_DEP_3)
	v_xor_b32_e32 v12, v10, v0
	v_xor_b32_e32 v14, v11, v0
	s_delay_alu instid0(TRANS32_DEP_1) | instskip(NEXT) | instid1(SALU_CYCLE_3)
	s_mul_f32 s2, s2, 0x5f7ffffc
	s_mul_f32 s22, s2, 0x2f800000
	s_delay_alu instid0(SALU_CYCLE_3) | instskip(NEXT) | instid1(SALU_CYCLE_3)
	s_trunc_f32 s22, s22
	s_fmamk_f32 s2, s22, 0xcf800000, s2
	s_cvt_u32_f32 s23, s22
	s_delay_alu instid0(SALU_CYCLE_2) | instskip(NEXT) | instid1(SALU_CYCLE_3)
	s_cvt_u32_f32 s22, s2
	s_mul_u64 s[26:27], s[24:25], s[22:23]
	s_delay_alu instid0(SALU_CYCLE_1)
	s_mul_hi_u32 s31, s22, s27
	s_mul_i32 s30, s22, s27
	s_mul_hi_u32 s28, s22, s26
	s_mul_i32 s33, s23, s26
	s_add_nc_u64 s[30:31], s[28:29], s[30:31]
	s_mul_hi_u32 s2, s23, s26
	s_mul_hi_u32 s36, s23, s27
	s_mul_i32 s26, s23, s27
	s_add_co_u32 s27, s30, s33
	s_add_co_ci_u32 s28, s31, s2
	s_add_co_ci_u32 s27, s36, 0
	s_delay_alu instid0(SALU_CYCLE_1) | instskip(NEXT) | instid1(SALU_CYCLE_1)
	s_add_nc_u64 s[26:27], s[28:29], s[26:27]
	s_add_co_u32 s22, s22, s26
	s_cselect_b32 s2, -1, 0
	s_delay_alu instid0(SALU_CYCLE_1) | instskip(SKIP_1) | instid1(SALU_CYCLE_1)
	s_cmp_lg_u32 s2, 0
	s_add_co_ci_u32 s23, s23, s27
	s_mul_u64 s[24:25], s[24:25], s[22:23]
	s_delay_alu instid0(SALU_CYCLE_1)
	s_mul_hi_u32 s27, s22, s25
	s_mul_i32 s26, s22, s25
	s_mul_hi_u32 s28, s22, s24
	s_mul_i32 s30, s23, s24
	s_add_nc_u64 s[26:27], s[28:29], s[26:27]
	s_mul_hi_u32 s2, s23, s24
	s_mul_hi_u32 s31, s23, s25
	s_mul_i32 s24, s23, s25
	s_add_co_u32 s25, s26, s30
	s_add_co_ci_u32 s28, s27, s2
	s_add_co_ci_u32 s25, s31, 0
	s_delay_alu instid0(SALU_CYCLE_1) | instskip(NEXT) | instid1(SALU_CYCLE_1)
	s_add_nc_u64 s[24:25], s[28:29], s[24:25]
	s_add_co_u32 s2, s22, s24
	s_cselect_b32 s22, -1, 0
	v_mul_hi_u32 v20, v12, s2
	s_cmp_lg_u32 s22, 0
	s_add_co_ci_u32 s28, s23, s25
	s_mov_b64 s[22:23], 0xffffffff
	v_mul_u64_e32 v[16:17], s[28:29], v[12:13]
	s_and_b64 s[22:23], s[2:3], s[22:23]
	v_mul_u64_e32 v[18:19], s[28:29], v[14:15]
	v_mul_u64_e32 v[10:11], s[22:23], v[14:15]
	s_delay_alu instid0(VALU_DEP_3) | instskip(NEXT) | instid1(VALU_DEP_1)
	v_add_nc_u64_e32 v[16:17], v[20:21], v[16:17]
	v_add_co_u32 v2, vcc_lo, v16, v10
	s_delay_alu instid0(VALU_DEP_2) | instskip(SKIP_1) | instid1(VALU_DEP_1)
	v_add_co_ci_u32_e32 v2, vcc_lo, v17, v11, vcc_lo
	v_add_co_ci_u32_e32 v19, vcc_lo, 0, v19, vcc_lo
	v_add_nc_u64_e32 v[2:3], v[2:3], v[18:19]
	s_delay_alu instid0(VALU_DEP_1) | instskip(NEXT) | instid1(VALU_DEP_1)
	v_mul_u64_e32 v[2:3], s[20:21], v[2:3]
	v_sub_nc_u32_e32 v10, v14, v3
	s_delay_alu instid0(VALU_DEP_2) | instskip(NEXT) | instid1(VALU_DEP_1)
	v_sub_co_u32 v2, vcc_lo, v12, v2
	v_sub_co_ci_u32_e64 v3, null, v14, v3, vcc_lo
	s_delay_alu instid0(VALU_DEP_3) | instskip(NEXT) | instid1(VALU_DEP_3)
	v_subrev_co_ci_u32_e64 v10, null, s21, v10, vcc_lo
	v_sub_co_u32 v11, vcc_lo, v2, s20
	v_cmp_le_u32_e64 s2, s20, v2
	s_delay_alu instid0(VALU_DEP_3) | instskip(SKIP_1) | instid1(VALU_DEP_3)
	v_subrev_co_ci_u32_e64 v12, null, 0, v10, vcc_lo
	v_subrev_co_ci_u32_e64 v10, null, s21, v10, vcc_lo
	v_cndmask_b32_e64 v13, 0, -1, s2
	v_cmp_le_u32_e64 s2, s20, v11
	v_cmp_le_u32_e32 vcc_lo, s21, v3
	s_delay_alu instid0(VALU_DEP_2) | instskip(SKIP_3) | instid1(VALU_DEP_3)
	v_cndmask_b32_e64 v14, 0, -1, s2
	v_cmp_le_u32_e64 s2, s21, v12
	v_cndmask_b32_e64 v16, 0, -1, vcc_lo
	v_cmp_eq_u32_e32 vcc_lo, s21, v12
	v_cndmask_b32_e64 v15, 0, -1, s2
	v_cmp_eq_u32_e64 s2, s21, v3
	s_delay_alu instid0(VALU_DEP_2) | instskip(SKIP_1) | instid1(VALU_DEP_1)
	v_cndmask_b32_e32 v14, v15, v14, vcc_lo
	v_sub_co_u32 v15, vcc_lo, v11, s20
	v_subrev_co_ci_u32_e64 v10, null, 0, v10, vcc_lo
	s_delay_alu instid0(VALU_DEP_3) | instskip(NEXT) | instid1(VALU_DEP_3)
	v_cmp_ne_u32_e32 vcc_lo, 0, v14
	v_dual_cndmask_b32 v13, v16, v13, s2 :: v_dual_cndmask_b32 v11, v11, v15, vcc_lo
	s_delay_alu instid0(VALU_DEP_3) | instskip(NEXT) | instid1(VALU_DEP_2)
	v_cndmask_b32_e32 v10, v12, v10, vcc_lo
	v_cmp_ne_u32_e32 vcc_lo, 0, v13
	s_delay_alu instid0(VALU_DEP_2) | instskip(NEXT) | instid1(VALU_DEP_1)
	v_dual_cndmask_b32 v2, v2, v11 :: v_dual_cndmask_b32 v3, v3, v10
	v_xor_b32_e32 v2, v2, v0
	s_delay_alu instid0(VALU_DEP_2) | instskip(NEXT) | instid1(VALU_DEP_1)
	v_xor_b32_e32 v3, v3, v0
	v_sub_nc_u64_e32 v[0:1], v[2:3], v[0:1]
.LBB0_6:
	s_or_saveexec_b32 s2, s3
	s_clause 0x1
	s_load_b128 s[28:31], s[34:35], 0x60
	s_load_b256 s[20:27], s[34:35], 0x40
	s_xor_b32 exec_lo, exec_lo, s2
	s_cbranch_execz .LBB0_8
; %bb.7:
	v_cvt_f32_u32_e32 v0, s10
	s_sub_co_i32 s3, 0, s10
	s_delay_alu instid0(VALU_DEP_1) | instskip(SKIP_1) | instid1(TRANS32_DEP_1)
	v_rcp_iflag_f32_e32 v0, v0
	v_nop
	v_mul_f32_e32 v0, 0x4f7ffffe, v0
	s_delay_alu instid0(VALU_DEP_1) | instskip(NEXT) | instid1(VALU_DEP_1)
	v_cvt_u32_f32_e32 v0, v0
	v_mul_lo_u32 v1, s3, v0
	s_delay_alu instid0(VALU_DEP_1) | instskip(NEXT) | instid1(VALU_DEP_1)
	v_mul_hi_u32 v1, v0, v1
	v_add_nc_u32_e32 v0, v0, v1
	s_delay_alu instid0(VALU_DEP_1) | instskip(NEXT) | instid1(VALU_DEP_1)
	v_mul_hi_u32 v0, v8, v0
	v_mul_lo_u32 v0, v0, s10
	s_delay_alu instid0(VALU_DEP_1) | instskip(NEXT) | instid1(VALU_DEP_1)
	v_sub_nc_u32_e32 v0, v8, v0
	v_subrev_nc_u32_e32 v1, s10, v0
	v_cmp_le_u32_e32 vcc_lo, s10, v0
	s_delay_alu instid0(VALU_DEP_2) | instskip(NEXT) | instid1(VALU_DEP_1)
	v_cndmask_b32_e32 v0, v0, v1, vcc_lo
	v_subrev_nc_u32_e32 v1, s10, v0
	v_cmp_le_u32_e32 vcc_lo, s10, v0
	s_delay_alu instid0(VALU_DEP_2)
	v_dual_cndmask_b32 v0, v0, v1 :: v_dual_mov_b32 v1, 0
.LBB0_8:
	s_or_b32 exec_lo, exec_lo, s2
	s_wait_xcnt 0x0
	s_mul_u64 s[34:35], s[10:11], s[8:9]
	s_delay_alu instid0(SALU_CYCLE_1) | instskip(NEXT) | instid1(SALU_CYCLE_1)
	s_and_b64 s[2:3], s[34:35], 0xffffffff00000000
	s_cmp_lg_u64 s[2:3], 0
	s_cbranch_scc0 .LBB0_46
; %bb.9:
	s_ashr_i32 s36, s35, 31
	v_dual_mov_b32 v3, 0 :: v_dual_mov_b32 v2, v4
	s_mov_b32 s37, s36
	s_delay_alu instid0(SALU_CYCLE_1) | instskip(NEXT) | instid1(SALU_CYCLE_1)
	s_add_nc_u64 s[2:3], s[34:35], s[36:37]
	s_xor_b64 s[38:39], s[2:3], s[36:37]
	s_delay_alu instid0(SALU_CYCLE_1) | instskip(SKIP_2) | instid1(SALU_CYCLE_2)
	s_cvt_f32_u32 s2, s38
	s_cvt_f32_u32 s3, s39
	s_sub_nc_u64 s[42:43], 0, s[38:39]
	s_fmamk_f32 s2, s3, 0x4f800000, s2
	s_delay_alu instid0(SALU_CYCLE_3) | instskip(NEXT) | instid1(TRANS32_DEP_1)
	v_s_rcp_f32 s2, s2
	s_mul_f32 s2, s2, 0x5f7ffffc
	s_delay_alu instid0(SALU_CYCLE_3) | instskip(NEXT) | instid1(SALU_CYCLE_3)
	s_mul_f32 s3, s2, 0x2f800000
	s_trunc_f32 s3, s3
	s_delay_alu instid0(SALU_CYCLE_3) | instskip(SKIP_2) | instid1(SALU_CYCLE_1)
	s_fmamk_f32 s2, s3, 0xcf800000, s2
	s_cvt_u32_f32 s41, s3
	s_mov_b32 s3, 0
	s_cvt_u32_f32 s40, s2
	s_delay_alu instid0(SALU_CYCLE_3) | instskip(NEXT) | instid1(SALU_CYCLE_1)
	s_mul_u64 s[44:45], s[42:43], s[40:41]
	s_mul_hi_u32 s47, s40, s45
	s_mul_i32 s46, s40, s45
	s_mul_hi_u32 s2, s40, s44
	s_mul_i32 s37, s41, s44
	s_add_nc_u64 s[46:47], s[2:3], s[46:47]
	s_mul_hi_u32 s33, s41, s44
	s_mul_hi_u32 s48, s41, s45
	s_add_co_u32 s2, s46, s37
	s_add_co_ci_u32 s2, s47, s33
	s_mul_i32 s44, s41, s45
	s_add_co_ci_u32 s45, s48, 0
	s_delay_alu instid0(SALU_CYCLE_1) | instskip(NEXT) | instid1(SALU_CYCLE_1)
	s_add_nc_u64 s[44:45], s[2:3], s[44:45]
	s_add_co_u32 s40, s40, s44
	s_cselect_b32 s2, -1, 0
	s_delay_alu instid0(SALU_CYCLE_1) | instskip(SKIP_1) | instid1(SALU_CYCLE_1)
	s_cmp_lg_u32 s2, 0
	s_add_co_ci_u32 s41, s41, s45
	s_mul_u64 s[42:43], s[42:43], s[40:41]
	s_delay_alu instid0(SALU_CYCLE_1)
	s_mul_hi_u32 s45, s40, s43
	s_mul_i32 s44, s40, s43
	s_mul_hi_u32 s2, s40, s42
	s_mul_i32 s37, s41, s42
	s_add_nc_u64 s[44:45], s[2:3], s[44:45]
	s_mul_hi_u32 s33, s41, s42
	s_mul_hi_u32 s46, s41, s43
	s_add_co_u32 s2, s44, s37
	s_add_co_ci_u32 s2, s45, s33
	s_mul_i32 s42, s41, s43
	s_add_co_ci_u32 s43, s46, 0
	s_delay_alu instid0(SALU_CYCLE_1) | instskip(NEXT) | instid1(SALU_CYCLE_1)
	s_add_nc_u64 s[42:43], s[2:3], s[42:43]
	s_add_co_u32 s40, s40, s42
	s_cselect_b32 s2, -1, 0
	s_delay_alu instid0(SALU_CYCLE_1)
	s_cmp_lg_u32 s2, 0
	s_add_co_ci_u32 s2, s41, s43
	s_mov_b64 s[42:43], 0xffffffff
	v_nop
	v_mul_u64_e32 v[10:11], s[2:3], v[2:3]
	v_mul_hi_u32 v2, v4, s40
	s_and_b64 s[40:41], s[40:41], s[42:43]
	s_delay_alu instid0(VALU_DEP_1) | instskip(SKIP_1) | instid1(VALU_DEP_1)
	v_add_nc_u64_e32 v[10:11], v[2:3], v[10:11]
	v_mov_b32_e32 v2, v5
	v_mul_u64_e32 v[12:13], s[40:41], v[2:3]
	v_mul_u64_e32 v[14:15], s[2:3], v[2:3]
	s_delay_alu instid0(VALU_DEP_2) | instskip(NEXT) | instid1(VALU_DEP_3)
	v_add_co_u32 v2, vcc_lo, v10, v12
	v_add_co_ci_u32_e32 v2, vcc_lo, v11, v13, vcc_lo
	s_delay_alu instid0(VALU_DEP_3) | instskip(NEXT) | instid1(VALU_DEP_1)
	v_add_co_ci_u32_e32 v15, vcc_lo, 0, v15, vcc_lo
	v_add_nc_u64_e32 v[2:3], v[2:3], v[14:15]
	s_delay_alu instid0(VALU_DEP_1) | instskip(NEXT) | instid1(VALU_DEP_1)
	v_mul_u64_e32 v[10:11], s[38:39], v[2:3]
	v_sub_nc_u32_e32 v12, v5, v11
	s_delay_alu instid0(VALU_DEP_2) | instskip(NEXT) | instid1(VALU_DEP_1)
	v_sub_co_u32 v10, vcc_lo, v4, v10
	v_sub_co_ci_u32_e64 v17, null, v5, v11, vcc_lo
	s_delay_alu instid0(VALU_DEP_3) | instskip(NEXT) | instid1(VALU_DEP_3)
	v_subrev_co_ci_u32_e64 v12, null, s39, v12, vcc_lo
	v_sub_co_u32 v14, s2, v10, s38
	v_cmp_le_u32_e32 vcc_lo, s38, v10
	s_delay_alu instid0(VALU_DEP_3) | instskip(NEXT) | instid1(VALU_DEP_3)
	v_subrev_co_ci_u32_e64 v15, null, 0, v12, s2
	v_cmp_le_u32_e64 s2, s38, v14
	v_add_nc_u64_e32 v[12:13], 2, v[2:3]
	v_cndmask_b32_e64 v18, 0, -1, vcc_lo
	s_delay_alu instid0(VALU_DEP_4) | instskip(SKIP_3) | instid1(VALU_DEP_1)
	v_cmp_eq_u32_e32 vcc_lo, s39, v15
	v_add_nc_u64_e32 v[10:11], 1, v[2:3]
	v_cndmask_b32_e64 v14, 0, -1, s2
	v_cmp_le_u32_e64 s2, s39, v15
	v_cndmask_b32_e64 v16, 0, -1, s2
	v_cmp_eq_u32_e64 s2, s39, v17
	s_delay_alu instid0(VALU_DEP_2) | instskip(SKIP_2) | instid1(VALU_DEP_3)
	v_cndmask_b32_e32 v14, v16, v14, vcc_lo
	v_cmp_le_u32_e32 vcc_lo, s39, v17
	v_cndmask_b32_e64 v15, 0, -1, vcc_lo
	v_cmp_ne_u32_e32 vcc_lo, 0, v14
	s_delay_alu instid0(VALU_DEP_2) | instskip(SKIP_1) | instid1(VALU_DEP_2)
	v_dual_cndmask_b32 v14, v15, v18, s2 :: v_dual_cndmask_b32 v10, v10, v12, vcc_lo
	v_cndmask_b32_e32 v11, v11, v13, vcc_lo
	v_cmp_ne_u32_e32 vcc_lo, 0, v14
	s_delay_alu instid0(VALU_DEP_2) | instskip(SKIP_1) | instid1(VALU_DEP_2)
	v_dual_cndmask_b32 v11, v3, v11 :: v_dual_cndmask_b32 v10, v2, v10
	v_dual_mov_b32 v3, s36 :: v_dual_mov_b32 v2, s36
	v_xor_b32_e32 v11, s36, v11
	s_delay_alu instid0(VALU_DEP_3) | instskip(NEXT) | instid1(VALU_DEP_1)
	v_xor_b32_e32 v10, s36, v10
	v_sub_nc_u64_e32 v[10:11], v[10:11], v[2:3]
	s_cbranch_execnz .LBB0_11
.LBB0_10:
	v_cvt_f32_u32_e32 v2, s34
	s_sub_co_i32 s2, 0, s34
	s_delay_alu instid0(VALU_DEP_1) | instskip(SKIP_1) | instid1(TRANS32_DEP_1)
	v_rcp_iflag_f32_e32 v2, v2
	v_nop
	v_mul_f32_e32 v2, 0x4f7ffffe, v2
	s_delay_alu instid0(VALU_DEP_1) | instskip(NEXT) | instid1(VALU_DEP_1)
	v_cvt_u32_f32_e32 v2, v2
	v_mul_lo_u32 v3, s2, v2
	s_delay_alu instid0(VALU_DEP_1) | instskip(NEXT) | instid1(VALU_DEP_1)
	v_mul_hi_u32 v3, v2, v3
	v_add_nc_u32_e32 v2, v2, v3
	s_delay_alu instid0(VALU_DEP_1) | instskip(NEXT) | instid1(VALU_DEP_1)
	v_mul_hi_u32 v2, v6, v2
	v_mul_lo_u32 v3, v2, s34
	s_delay_alu instid0(VALU_DEP_1) | instskip(NEXT) | instid1(VALU_DEP_1)
	v_sub_nc_u32_e32 v3, v6, v3
	v_subrev_nc_u32_e32 v11, s34, v3
	v_cmp_le_u32_e32 vcc_lo, s34, v3
	s_delay_alu instid0(VALU_DEP_2) | instskip(NEXT) | instid1(VALU_DEP_1)
	v_dual_cndmask_b32 v3, v3, v11 :: v_dual_add_nc_u32 v10, 1, v2
	v_dual_cndmask_b32 v2, v2, v10 :: v_dual_mov_b32 v11, 0
	s_delay_alu instid0(VALU_DEP_2) | instskip(NEXT) | instid1(VALU_DEP_2)
	v_cmp_le_u32_e32 vcc_lo, s34, v3
	v_add_nc_u32_e32 v10, 1, v2
	s_delay_alu instid0(VALU_DEP_1)
	v_cndmask_b32_e32 v10, v2, v10, vcc_lo
.LBB0_11:
	s_wait_kmcnt 0x0
	s_delay_alu instid0(VALU_DEP_1) | instskip(SKIP_1) | instid1(VALU_DEP_1)
	v_dual_mov_b32 v12, 0 :: v_dual_bitop2_b32 v13, s31, v11 bitop3:0x54
                                        ; implicit-def: $vgpr2_vgpr3
	s_mov_b32 s2, exec_lo
	v_cmpx_ne_u64_e32 0, v[12:13]
	s_xor_b32 s3, exec_lo, s2
	s_cbranch_execz .LBB0_13
; %bb.12:
	s_ashr_i32 s36, s31, 31
	s_mov_b32 s45, 0
	s_mov_b32 s37, s36
	v_dual_mov_b32 v15, v12 :: v_dual_ashrrev_i32 v2, 31, v11
	s_add_nc_u64 s[38:39], s[30:31], s[36:37]
	v_mov_b32_e32 v17, v12
	s_xor_b64 s[36:37], s[38:39], s[36:37]
	s_delay_alu instid0(VALU_DEP_2)
	v_mov_b32_e32 v3, v2
	s_cvt_f32_u32 s2, s36
	s_cvt_f32_u32 s33, s37
	s_sub_nc_u64 s[40:41], 0, s[36:37]
	v_mov_b32_e32 v23, v12
	v_add_nc_u64_e32 v[10:11], v[10:11], v[2:3]
	s_fmamk_f32 s2, s33, 0x4f800000, s2
	v_mov_b32_e32 v13, v12
	s_delay_alu instid0(SALU_CYCLE_2) | instskip(NEXT) | instid1(VALU_DEP_2)
	v_s_rcp_f32 s2, s2
	v_xor_b32_e32 v14, v10, v2
	s_delay_alu instid0(VALU_DEP_3) | instskip(NEXT) | instid1(TRANS32_DEP_1)
	v_xor_b32_e32 v16, v11, v2
	s_mul_f32 s2, s2, 0x5f7ffffc
	s_delay_alu instid0(SALU_CYCLE_3) | instskip(NEXT) | instid1(SALU_CYCLE_3)
	s_mul_f32 s33, s2, 0x2f800000
	s_trunc_f32 s33, s33
	s_delay_alu instid0(SALU_CYCLE_3) | instskip(SKIP_1) | instid1(SALU_CYCLE_2)
	s_fmamk_f32 s2, s33, 0xcf800000, s2
	s_cvt_u32_f32 s39, s33
	s_cvt_u32_f32 s38, s2
	s_delay_alu instid0(SALU_CYCLE_3) | instskip(NEXT) | instid1(SALU_CYCLE_1)
	s_mul_u64 s[42:43], s[40:41], s[38:39]
	s_mul_hi_u32 s47, s38, s43
	s_mul_i32 s46, s38, s43
	s_mul_hi_u32 s44, s38, s42
	s_mul_i32 s33, s39, s42
	s_add_nc_u64 s[46:47], s[44:45], s[46:47]
	s_mul_hi_u32 s2, s39, s42
	s_mul_hi_u32 s48, s39, s43
	s_add_co_u32 s33, s46, s33
	s_add_co_ci_u32 s44, s47, s2
	s_mul_i32 s42, s39, s43
	s_add_co_ci_u32 s43, s48, 0
	s_delay_alu instid0(SALU_CYCLE_1) | instskip(NEXT) | instid1(SALU_CYCLE_1)
	s_add_nc_u64 s[42:43], s[44:45], s[42:43]
	s_add_co_u32 s38, s38, s42
	s_cselect_b32 s2, -1, 0
	s_delay_alu instid0(SALU_CYCLE_1) | instskip(SKIP_1) | instid1(SALU_CYCLE_1)
	s_cmp_lg_u32 s2, 0
	s_add_co_ci_u32 s39, s39, s43
	s_mul_u64 s[40:41], s[40:41], s[38:39]
	s_delay_alu instid0(SALU_CYCLE_1)
	s_mul_hi_u32 s43, s38, s41
	s_mul_i32 s42, s38, s41
	s_mul_hi_u32 s44, s38, s40
	s_mul_i32 s33, s39, s40
	s_add_nc_u64 s[42:43], s[44:45], s[42:43]
	s_mul_hi_u32 s2, s39, s40
	s_mul_hi_u32 s46, s39, s41
	s_add_co_u32 s33, s42, s33
	s_add_co_ci_u32 s44, s43, s2
	s_mul_i32 s40, s39, s41
	s_add_co_ci_u32 s41, s46, 0
	s_delay_alu instid0(SALU_CYCLE_1) | instskip(NEXT) | instid1(SALU_CYCLE_1)
	s_add_nc_u64 s[40:41], s[44:45], s[40:41]
	s_add_co_u32 s2, s38, s40
	s_cselect_b32 s33, -1, 0
	v_mul_hi_u32 v22, v14, s2
	s_cmp_lg_u32 s33, 0
	s_add_co_ci_u32 s44, s39, s41
	s_mov_b64 s[38:39], 0xffffffff
	v_mul_u64_e32 v[18:19], s[44:45], v[14:15]
	s_and_b64 s[38:39], s[2:3], s[38:39]
	v_mul_u64_e32 v[20:21], s[44:45], v[16:17]
	v_mul_u64_e32 v[10:11], s[38:39], v[16:17]
	s_delay_alu instid0(VALU_DEP_3) | instskip(NEXT) | instid1(VALU_DEP_1)
	v_add_nc_u64_e32 v[18:19], v[22:23], v[18:19]
	v_add_co_u32 v10, vcc_lo, v18, v10
	s_delay_alu instid0(VALU_DEP_2) | instskip(SKIP_1) | instid1(VALU_DEP_1)
	v_add_co_ci_u32_e32 v12, vcc_lo, v19, v11, vcc_lo
	v_add_co_ci_u32_e32 v21, vcc_lo, 0, v21, vcc_lo
	v_add_nc_u64_e32 v[10:11], v[12:13], v[20:21]
	s_delay_alu instid0(VALU_DEP_1) | instskip(NEXT) | instid1(VALU_DEP_1)
	v_mul_u64_e32 v[10:11], s[36:37], v[10:11]
	v_sub_nc_u32_e32 v12, v16, v11
	s_delay_alu instid0(VALU_DEP_2) | instskip(NEXT) | instid1(VALU_DEP_1)
	v_sub_co_u32 v10, vcc_lo, v14, v10
	v_sub_co_ci_u32_e64 v11, null, v16, v11, vcc_lo
	s_delay_alu instid0(VALU_DEP_3) | instskip(NEXT) | instid1(VALU_DEP_3)
	v_subrev_co_ci_u32_e64 v12, null, s37, v12, vcc_lo
	v_sub_co_u32 v13, vcc_lo, v10, s36
	v_cmp_le_u32_e64 s2, s36, v10
	s_delay_alu instid0(VALU_DEP_3) | instskip(SKIP_1) | instid1(VALU_DEP_3)
	v_subrev_co_ci_u32_e64 v14, null, 0, v12, vcc_lo
	v_subrev_co_ci_u32_e64 v12, null, s37, v12, vcc_lo
	v_cndmask_b32_e64 v15, 0, -1, s2
	v_cmp_le_u32_e64 s2, s36, v13
	v_cmp_le_u32_e32 vcc_lo, s37, v11
	s_delay_alu instid0(VALU_DEP_2) | instskip(SKIP_3) | instid1(VALU_DEP_3)
	v_cndmask_b32_e64 v16, 0, -1, s2
	v_cmp_le_u32_e64 s2, s37, v14
	v_cndmask_b32_e64 v18, 0, -1, vcc_lo
	v_cmp_eq_u32_e32 vcc_lo, s37, v14
	v_cndmask_b32_e64 v17, 0, -1, s2
	v_cmp_eq_u32_e64 s2, s37, v11
	s_delay_alu instid0(VALU_DEP_2) | instskip(SKIP_1) | instid1(VALU_DEP_1)
	v_cndmask_b32_e32 v16, v17, v16, vcc_lo
	v_sub_co_u32 v17, vcc_lo, v13, s36
	v_subrev_co_ci_u32_e64 v12, null, 0, v12, vcc_lo
	s_delay_alu instid0(VALU_DEP_3) | instskip(NEXT) | instid1(VALU_DEP_3)
	v_cmp_ne_u32_e32 vcc_lo, 0, v16
	v_dual_cndmask_b32 v15, v18, v15, s2 :: v_dual_cndmask_b32 v13, v13, v17, vcc_lo
	s_delay_alu instid0(VALU_DEP_3) | instskip(NEXT) | instid1(VALU_DEP_2)
	v_cndmask_b32_e32 v12, v14, v12, vcc_lo
	v_cmp_ne_u32_e32 vcc_lo, 0, v15
	s_delay_alu instid0(VALU_DEP_2) | instskip(NEXT) | instid1(VALU_DEP_1)
	v_dual_cndmask_b32 v11, v11, v12 :: v_dual_cndmask_b32 v10, v10, v13
	v_xor_b32_e32 v11, v11, v2
	s_delay_alu instid0(VALU_DEP_2) | instskip(NEXT) | instid1(VALU_DEP_1)
	v_xor_b32_e32 v10, v10, v2
	v_sub_nc_u64_e32 v[2:3], v[10:11], v[2:3]
                                        ; implicit-def: $vgpr10_vgpr11
.LBB0_13:
	s_and_not1_saveexec_b32 s2, s3
	s_cbranch_execz .LBB0_15
; %bb.14:
	v_cvt_f32_u32_e32 v2, s30
	s_sub_co_i32 s3, 0, s30
	s_delay_alu instid0(VALU_DEP_1) | instskip(SKIP_1) | instid1(TRANS32_DEP_1)
	v_rcp_iflag_f32_e32 v2, v2
	v_nop
	v_mul_f32_e32 v2, 0x4f7ffffe, v2
	s_delay_alu instid0(VALU_DEP_1) | instskip(NEXT) | instid1(VALU_DEP_1)
	v_cvt_u32_f32_e32 v2, v2
	v_mul_lo_u32 v3, s3, v2
	s_delay_alu instid0(VALU_DEP_1) | instskip(NEXT) | instid1(VALU_DEP_1)
	v_mul_hi_u32 v3, v2, v3
	v_add_nc_u32_e32 v2, v2, v3
	s_delay_alu instid0(VALU_DEP_1) | instskip(NEXT) | instid1(VALU_DEP_1)
	v_mul_hi_u32 v2, v10, v2
	v_mul_lo_u32 v2, v2, s30
	s_delay_alu instid0(VALU_DEP_1) | instskip(NEXT) | instid1(VALU_DEP_1)
	v_sub_nc_u32_e32 v2, v10, v2
	v_subrev_nc_u32_e32 v3, s30, v2
	v_cmp_le_u32_e32 vcc_lo, s30, v2
	s_delay_alu instid0(VALU_DEP_2) | instskip(NEXT) | instid1(VALU_DEP_1)
	v_cndmask_b32_e32 v2, v2, v3, vcc_lo
	v_subrev_nc_u32_e32 v3, s30, v2
	v_cmp_le_u32_e32 vcc_lo, s30, v2
	s_delay_alu instid0(VALU_DEP_2)
	v_dual_cndmask_b32 v2, v2, v3 :: v_dual_mov_b32 v3, 0
.LBB0_15:
	s_or_b32 exec_lo, exec_lo, s2
	s_mul_u64 s[34:35], s[30:31], s[34:35]
	s_delay_alu instid0(SALU_CYCLE_1) | instskip(NEXT) | instid1(SALU_CYCLE_1)
	s_and_b64 s[2:3], s[34:35], 0xffffffff00000000
	s_cmp_lg_u64 s[2:3], 0
	s_cbranch_scc0 .LBB0_47
; %bb.16:
	s_ashr_i32 s36, s35, 31
	v_dual_mov_b32 v11, 0 :: v_dual_mov_b32 v10, v4
	s_mov_b32 s37, s36
	s_delay_alu instid0(SALU_CYCLE_1) | instskip(NEXT) | instid1(SALU_CYCLE_1)
	s_add_nc_u64 s[2:3], s[34:35], s[36:37]
	s_xor_b64 s[38:39], s[2:3], s[36:37]
	s_delay_alu instid0(SALU_CYCLE_1) | instskip(SKIP_2) | instid1(SALU_CYCLE_2)
	s_cvt_f32_u32 s2, s38
	s_cvt_f32_u32 s3, s39
	s_sub_nc_u64 s[42:43], 0, s[38:39]
	s_fmamk_f32 s2, s3, 0x4f800000, s2
	s_delay_alu instid0(SALU_CYCLE_3) | instskip(NEXT) | instid1(TRANS32_DEP_1)
	v_s_rcp_f32 s2, s2
	s_mul_f32 s2, s2, 0x5f7ffffc
	s_delay_alu instid0(SALU_CYCLE_3) | instskip(NEXT) | instid1(SALU_CYCLE_3)
	s_mul_f32 s3, s2, 0x2f800000
	s_trunc_f32 s3, s3
	s_delay_alu instid0(SALU_CYCLE_3) | instskip(SKIP_2) | instid1(SALU_CYCLE_1)
	s_fmamk_f32 s2, s3, 0xcf800000, s2
	s_cvt_u32_f32 s41, s3
	s_mov_b32 s3, 0
	s_cvt_u32_f32 s40, s2
	s_delay_alu instid0(SALU_CYCLE_3) | instskip(NEXT) | instid1(SALU_CYCLE_1)
	s_mul_u64 s[44:45], s[42:43], s[40:41]
	s_mul_hi_u32 s47, s40, s45
	s_mul_i32 s46, s40, s45
	s_mul_hi_u32 s2, s40, s44
	s_mul_i32 s35, s41, s44
	s_add_nc_u64 s[46:47], s[2:3], s[46:47]
	s_mul_hi_u32 s33, s41, s44
	s_mul_hi_u32 s37, s41, s45
	s_add_co_u32 s2, s46, s35
	s_add_co_ci_u32 s2, s47, s33
	s_mul_i32 s44, s41, s45
	s_add_co_ci_u32 s45, s37, 0
	s_delay_alu instid0(SALU_CYCLE_1) | instskip(NEXT) | instid1(SALU_CYCLE_1)
	s_add_nc_u64 s[44:45], s[2:3], s[44:45]
	s_add_co_u32 s40, s40, s44
	s_cselect_b32 s2, -1, 0
	s_delay_alu instid0(SALU_CYCLE_1) | instskip(SKIP_1) | instid1(SALU_CYCLE_1)
	s_cmp_lg_u32 s2, 0
	s_add_co_ci_u32 s41, s41, s45
	s_mul_u64 s[42:43], s[42:43], s[40:41]
	s_delay_alu instid0(SALU_CYCLE_1)
	s_mul_hi_u32 s45, s40, s43
	s_mul_i32 s44, s40, s43
	s_mul_hi_u32 s2, s40, s42
	s_mul_i32 s35, s41, s42
	s_add_nc_u64 s[44:45], s[2:3], s[44:45]
	s_mul_hi_u32 s33, s41, s42
	s_mul_hi_u32 s37, s41, s43
	s_add_co_u32 s2, s44, s35
	s_add_co_ci_u32 s2, s45, s33
	s_mul_i32 s42, s41, s43
	s_add_co_ci_u32 s43, s37, 0
	s_delay_alu instid0(SALU_CYCLE_1) | instskip(NEXT) | instid1(SALU_CYCLE_1)
	s_add_nc_u64 s[42:43], s[2:3], s[42:43]
	s_add_co_u32 s40, s40, s42
	s_cselect_b32 s2, -1, 0
	s_delay_alu instid0(SALU_CYCLE_1)
	s_cmp_lg_u32 s2, 0
	s_add_co_ci_u32 s2, s41, s43
	s_mov_b64 s[42:43], 0xffffffff
	v_nop
	v_mul_u64_e32 v[12:13], s[2:3], v[10:11]
	v_mul_hi_u32 v10, v4, s40
	s_and_b64 s[40:41], s[40:41], s[42:43]
	s_delay_alu instid0(VALU_DEP_1) | instskip(SKIP_1) | instid1(VALU_DEP_1)
	v_add_nc_u64_e32 v[12:13], v[10:11], v[12:13]
	v_mov_b32_e32 v10, v5
	v_mul_u64_e32 v[14:15], s[40:41], v[10:11]
	v_mul_u64_e32 v[16:17], s[2:3], v[10:11]
	s_delay_alu instid0(VALU_DEP_2) | instskip(NEXT) | instid1(VALU_DEP_3)
	v_add_co_u32 v10, vcc_lo, v12, v14
	v_add_co_ci_u32_e32 v10, vcc_lo, v13, v15, vcc_lo
	s_delay_alu instid0(VALU_DEP_3) | instskip(NEXT) | instid1(VALU_DEP_1)
	v_add_co_ci_u32_e32 v17, vcc_lo, 0, v17, vcc_lo
	v_add_nc_u64_e32 v[10:11], v[10:11], v[16:17]
	s_delay_alu instid0(VALU_DEP_1) | instskip(NEXT) | instid1(VALU_DEP_1)
	v_mul_u64_e32 v[12:13], s[38:39], v[10:11]
	v_sub_nc_u32_e32 v14, v5, v13
	s_delay_alu instid0(VALU_DEP_2) | instskip(NEXT) | instid1(VALU_DEP_1)
	v_sub_co_u32 v4, vcc_lo, v4, v12
	v_sub_co_ci_u32_e64 v13, null, v5, v13, vcc_lo
	s_delay_alu instid0(VALU_DEP_3) | instskip(NEXT) | instid1(VALU_DEP_3)
	v_subrev_co_ci_u32_e64 v12, null, s39, v14, vcc_lo
	v_sub_co_u32 v16, s2, v4, s38
	v_cmp_le_u32_e32 vcc_lo, s38, v4
	s_delay_alu instid0(VALU_DEP_3) | instskip(NEXT) | instid1(VALU_DEP_3)
	v_subrev_co_ci_u32_e64 v12, null, 0, v12, s2
	v_cmp_le_u32_e64 s2, s38, v16
	v_add_nc_u64_e32 v[14:15], 2, v[10:11]
	v_cndmask_b32_e64 v18, 0, -1, vcc_lo
	s_delay_alu instid0(VALU_DEP_4) | instskip(SKIP_3) | instid1(VALU_DEP_1)
	v_cmp_eq_u32_e32 vcc_lo, s39, v12
	v_add_nc_u64_e32 v[4:5], 1, v[10:11]
	v_cndmask_b32_e64 v16, 0, -1, s2
	v_cmp_le_u32_e64 s2, s39, v12
	v_cndmask_b32_e64 v17, 0, -1, s2
	v_cmp_eq_u32_e64 s2, s39, v13
	s_delay_alu instid0(VALU_DEP_2) | instskip(SKIP_2) | instid1(VALU_DEP_3)
	v_cndmask_b32_e32 v12, v17, v16, vcc_lo
	v_cmp_le_u32_e32 vcc_lo, s39, v13
	v_cndmask_b32_e64 v16, 0, -1, vcc_lo
	v_cmp_ne_u32_e32 vcc_lo, 0, v12
	s_delay_alu instid0(VALU_DEP_2) | instskip(SKIP_1) | instid1(VALU_DEP_2)
	v_dual_cndmask_b32 v12, v16, v18, s2 :: v_dual_cndmask_b32 v5, v5, v15, vcc_lo
	v_cndmask_b32_e32 v4, v4, v14, vcc_lo
	v_cmp_ne_u32_e32 vcc_lo, 0, v12
	s_delay_alu instid0(VALU_DEP_2) | instskip(SKIP_1) | instid1(VALU_DEP_2)
	v_dual_cndmask_b32 v11, v11, v5 :: v_dual_cndmask_b32 v10, v10, v4
	v_dual_mov_b32 v5, s36 :: v_dual_mov_b32 v4, s36
	v_xor_b32_e32 v11, s36, v11
	s_delay_alu instid0(VALU_DEP_3) | instskip(NEXT) | instid1(VALU_DEP_1)
	v_xor_b32_e32 v10, s36, v10
	v_sub_nc_u64_e32 v[4:5], v[10:11], v[4:5]
	s_cbranch_execnz .LBB0_18
.LBB0_17:
	v_cvt_f32_u32_e32 v4, s34
	s_sub_co_i32 s2, 0, s34
	s_delay_alu instid0(VALU_DEP_1) | instskip(SKIP_1) | instid1(TRANS32_DEP_1)
	v_rcp_iflag_f32_e32 v4, v4
	v_nop
	v_mul_f32_e32 v4, 0x4f7ffffe, v4
	s_delay_alu instid0(VALU_DEP_1) | instskip(NEXT) | instid1(VALU_DEP_1)
	v_cvt_u32_f32_e32 v4, v4
	v_mul_lo_u32 v5, s2, v4
	s_delay_alu instid0(VALU_DEP_1) | instskip(NEXT) | instid1(VALU_DEP_1)
	v_mul_hi_u32 v5, v4, v5
	v_add_nc_u32_e32 v4, v4, v5
	s_delay_alu instid0(VALU_DEP_1) | instskip(NEXT) | instid1(VALU_DEP_1)
	v_mul_hi_u32 v4, v6, v4
	v_mul_lo_u32 v5, v4, s34
	s_delay_alu instid0(VALU_DEP_1) | instskip(NEXT) | instid1(VALU_DEP_1)
	v_dual_add_nc_u32 v10, 1, v4 :: v_dual_sub_nc_u32 v5, v6, v5
	v_subrev_nc_u32_e32 v11, s34, v5
	v_cmp_le_u32_e32 vcc_lo, s34, v5
	s_delay_alu instid0(VALU_DEP_2) | instskip(NEXT) | instid1(VALU_DEP_1)
	v_dual_cndmask_b32 v5, v5, v11 :: v_dual_cndmask_b32 v4, v4, v10
	v_cmp_le_u32_e32 vcc_lo, s34, v5
	s_delay_alu instid0(VALU_DEP_2) | instskip(NEXT) | instid1(VALU_DEP_1)
	v_dual_mov_b32 v5, 0 :: v_dual_add_nc_u32 v10, 1, v4
	v_cndmask_b32_e32 v4, v4, v10, vcc_lo
.LBB0_18:
	v_mul_u64_e32 v[8:9], s[8:9], v[8:9]
	v_cmp_lt_i64_e64 s2, s[28:29], 1
	s_and_b32 vcc_lo, exec_lo, s2
	v_sub_nc_u64_e32 v[6:7], v[6:7], v[8:9]
	s_cbranch_vccnz .LBB0_48
; %bb.19:
	v_mul_u64_e32 v[8:9], s[18:19], v[0:1]
	s_add_nc_u64 s[2:3], s[22:23], s[26:27]
	v_mov_b32_e32 v14, 0
	s_delay_alu instid0(VALU_DEP_2) | instskip(NEXT) | instid1(VALU_DEP_3)
	v_not_b32_e32 v11, v9
	v_not_b32_e32 v10, v8
	s_delay_alu instid0(VALU_DEP_1) | instskip(SKIP_1) | instid1(VALU_DEP_1)
	v_add_nc_u64_e32 v[12:13], s[2:3], v[10:11]
                                        ; implicit-def: $vgpr10_vgpr11
	s_mov_b32 s2, exec_lo
	v_or_b32_e32 v15, s27, v13
	s_delay_alu instid0(VALU_DEP_1)
	v_cmpx_ne_u64_e32 0, v[14:15]
	s_xor_b32 s3, exec_lo, s2
	s_cbranch_execz .LBB0_21
; %bb.20:
	s_ashr_i32 s18, s27, 31
	s_mov_b32 s43, 0
	s_mov_b32 s19, s18
	v_dual_mov_b32 v19, v14 :: v_dual_ashrrev_i32 v10, 31, v13
	s_add_nc_u64 s[34:35], s[26:27], s[18:19]
	v_dual_mov_b32 v27, v14 :: v_dual_mov_b32 v15, v14
	s_xor_b64 s[34:35], s[34:35], s[18:19]
	s_delay_alu instid0(VALU_DEP_2) | instskip(SKIP_3) | instid1(VALU_DEP_1)
	v_mov_b32_e32 v11, v10
	s_cvt_f32_u32 s2, s34
	s_cvt_f32_u32 s19, s35
	s_sub_nc_u64 s[38:39], 0, s[34:35]
	v_add_nc_u64_e32 v[16:17], v[12:13], v[10:11]
	s_delay_alu instid0(SALU_CYCLE_1) | instskip(SKIP_1) | instid1(SALU_CYCLE_2)
	s_fmamk_f32 s2, s19, 0x4f800000, s2
	v_mov_b32_e32 v21, v14
	v_s_rcp_f32 s2, s2
	s_delay_alu instid0(VALU_DEP_2) | instskip(NEXT) | instid1(VALU_DEP_3)
	v_xor_b32_e32 v18, v16, v10
	v_xor_b32_e32 v20, v17, v10
	;; [unrolled: 1-line block ×3, first 2 shown]
	s_delay_alu instid0(TRANS32_DEP_1) | instskip(NEXT) | instid1(SALU_CYCLE_3)
	s_mul_f32 s2, s2, 0x5f7ffffc
	s_mul_f32 s19, s2, 0x2f800000
	s_delay_alu instid0(SALU_CYCLE_3) | instskip(NEXT) | instid1(SALU_CYCLE_3)
	s_trunc_f32 s19, s19
	s_fmamk_f32 s2, s19, 0xcf800000, s2
	s_cvt_u32_f32 s37, s19
	s_delay_alu instid0(SALU_CYCLE_2) | instskip(NEXT) | instid1(SALU_CYCLE_3)
	s_cvt_u32_f32 s36, s2
	s_mul_u64 s[40:41], s[38:39], s[36:37]
	s_delay_alu instid0(SALU_CYCLE_1)
	s_mul_hi_u32 s45, s36, s41
	s_mul_i32 s44, s36, s41
	s_mul_hi_u32 s42, s36, s40
	s_mul_i32 s19, s37, s40
	s_add_nc_u64 s[44:45], s[42:43], s[44:45]
	s_mul_hi_u32 s2, s37, s40
	s_mul_hi_u32 s33, s37, s41
	s_add_co_u32 s19, s44, s19
	s_add_co_ci_u32 s42, s45, s2
	s_mul_i32 s40, s37, s41
	s_add_co_ci_u32 s41, s33, 0
	s_delay_alu instid0(SALU_CYCLE_1) | instskip(NEXT) | instid1(SALU_CYCLE_1)
	s_add_nc_u64 s[40:41], s[42:43], s[40:41]
	s_add_co_u32 s36, s36, s40
	s_cselect_b32 s2, -1, 0
	s_delay_alu instid0(SALU_CYCLE_1) | instskip(SKIP_1) | instid1(SALU_CYCLE_1)
	s_cmp_lg_u32 s2, 0
	s_add_co_ci_u32 s37, s37, s41
	s_mul_u64 s[38:39], s[38:39], s[36:37]
	s_delay_alu instid0(SALU_CYCLE_1)
	s_mul_hi_u32 s41, s36, s39
	s_mul_i32 s40, s36, s39
	s_mul_hi_u32 s42, s36, s38
	s_mul_i32 s19, s37, s38
	s_add_nc_u64 s[40:41], s[42:43], s[40:41]
	s_mul_hi_u32 s2, s37, s38
	s_mul_hi_u32 s33, s37, s39
	s_add_co_u32 s19, s40, s19
	s_add_co_ci_u32 s42, s41, s2
	s_mul_i32 s38, s37, s39
	s_add_co_ci_u32 s39, s33, 0
	s_delay_alu instid0(SALU_CYCLE_1) | instskip(NEXT) | instid1(SALU_CYCLE_1)
	s_add_nc_u64 s[38:39], s[42:43], s[38:39]
	s_add_co_u32 s2, s36, s38
	s_cselect_b32 s19, -1, 0
	v_mul_hi_u32 v26, v18, s2
	s_cmp_lg_u32 s19, 0
	s_add_co_ci_u32 s42, s37, s39
	s_mov_b64 s[36:37], 0xffffffff
	v_mul_u64_e32 v[22:23], s[42:43], v[18:19]
	s_and_b64 s[36:37], s[2:3], s[36:37]
	v_mul_u64_e32 v[24:25], s[42:43], v[20:21]
	v_mul_u64_e32 v[16:17], s[36:37], v[20:21]
	s_delay_alu instid0(VALU_DEP_3) | instskip(NEXT) | instid1(VALU_DEP_1)
	v_add_nc_u64_e32 v[22:23], v[26:27], v[22:23]
	v_add_co_u32 v11, vcc_lo, v22, v16
	s_delay_alu instid0(VALU_DEP_2) | instskip(SKIP_1) | instid1(VALU_DEP_1)
	v_add_co_ci_u32_e32 v14, vcc_lo, v23, v17, vcc_lo
	v_add_co_ci_u32_e32 v25, vcc_lo, 0, v25, vcc_lo
	v_add_nc_u64_e32 v[14:15], v[14:15], v[24:25]
	s_delay_alu instid0(VALU_DEP_1) | instskip(NEXT) | instid1(VALU_DEP_1)
	v_mul_u64_e32 v[16:17], s[34:35], v[14:15]
	v_sub_nc_u32_e32 v11, v20, v17
	s_delay_alu instid0(VALU_DEP_2) | instskip(NEXT) | instid1(VALU_DEP_1)
	v_sub_co_u32 v16, vcc_lo, v18, v16
	v_sub_co_ci_u32_e64 v20, null, v20, v17, vcc_lo
	s_delay_alu instid0(VALU_DEP_3) | instskip(NEXT) | instid1(VALU_DEP_3)
	v_subrev_co_ci_u32_e64 v11, null, s35, v11, vcc_lo
	v_sub_co_u32 v18, s2, v16, s34
	s_delay_alu instid0(VALU_DEP_1) | instskip(NEXT) | instid1(VALU_DEP_2)
	v_subrev_co_ci_u32_e64 v11, null, 0, v11, s2
	v_cmp_le_u32_e32 vcc_lo, s34, v18
	v_cndmask_b32_e64 v17, 0, -1, vcc_lo
	s_delay_alu instid0(VALU_DEP_3)
	v_cmp_le_u32_e32 vcc_lo, s35, v11
	v_cndmask_b32_e64 v18, 0, -1, vcc_lo
	v_cmp_le_u32_e32 vcc_lo, s34, v16
	v_cndmask_b32_e64 v21, 0, -1, vcc_lo
	;; [unrolled: 2-line block ×3, first 2 shown]
	v_cmp_eq_u32_e32 vcc_lo, s35, v11
	v_cndmask_b32_e32 v11, v18, v17, vcc_lo
	v_cmp_eq_u32_e32 vcc_lo, s35, v20
	v_add_nc_u64_e32 v[16:17], 2, v[14:15]
	v_add_nc_u64_e32 v[18:19], 1, v[14:15]
	v_cndmask_b32_e32 v20, v22, v21, vcc_lo
	v_cmp_ne_u32_e32 vcc_lo, 0, v11
	s_delay_alu instid0(VALU_DEP_2) | instskip(NEXT) | instid1(VALU_DEP_4)
	v_cmp_ne_u32_e64 s2, 0, v20
	v_dual_cndmask_b32 v16, v18, v16 :: v_dual_cndmask_b32 v11, v19, v17
	s_delay_alu instid0(VALU_DEP_1) | instskip(SKIP_1) | instid1(VALU_DEP_2)
	v_dual_cndmask_b32 v14, v14, v16, s2 :: v_dual_cndmask_b32 v15, v15, v11, s2
	v_mov_b32_e32 v11, v10
	v_xor_b32_e32 v14, v14, v10
	s_delay_alu instid0(VALU_DEP_3) | instskip(NEXT) | instid1(VALU_DEP_1)
	v_xor_b32_e32 v15, v15, v10
	v_sub_nc_u64_e32 v[10:11], v[14:15], v[10:11]
.LBB0_21:
	s_or_saveexec_b32 s2, s3
	v_cvt_f32_u32_e32 v18, s26
	s_xor_b32 exec_lo, exec_lo, s2
	s_cbranch_execz .LBB0_23
; %bb.22:
	s_delay_alu instid0(VALU_DEP_1) | instskip(SKIP_2) | instid1(TRANS32_DEP_1)
	v_rcp_iflag_f32_e32 v10, v18
	s_sub_co_i32 s3, 0, s26
	v_nop
	v_mul_f32_e32 v10, 0x4f7ffffe, v10
	s_delay_alu instid0(VALU_DEP_1) | instskip(NEXT) | instid1(VALU_DEP_1)
	v_cvt_u32_f32_e32 v10, v10
	v_mul_lo_u32 v11, s3, v10
	s_delay_alu instid0(VALU_DEP_1) | instskip(NEXT) | instid1(VALU_DEP_1)
	v_mul_hi_u32 v11, v10, v11
	v_add_nc_u32_e32 v10, v10, v11
	s_delay_alu instid0(VALU_DEP_1) | instskip(NEXT) | instid1(VALU_DEP_1)
	v_mul_hi_u32 v10, v12, v10
	v_mul_lo_u32 v11, v10, s26
	s_delay_alu instid0(VALU_DEP_1) | instskip(NEXT) | instid1(VALU_DEP_1)
	v_sub_nc_u32_e32 v11, v12, v11
	v_subrev_nc_u32_e32 v15, s26, v11
	v_cmp_le_u32_e32 vcc_lo, s26, v11
	s_delay_alu instid0(VALU_DEP_2) | instskip(NEXT) | instid1(VALU_DEP_1)
	v_dual_cndmask_b32 v11, v11, v15 :: v_dual_add_nc_u32 v14, 1, v10
	v_cndmask_b32_e32 v10, v10, v14, vcc_lo
	s_delay_alu instid0(VALU_DEP_2) | instskip(NEXT) | instid1(VALU_DEP_2)
	v_cmp_le_u32_e32 vcc_lo, s26, v11
	v_dual_mov_b32 v11, 0 :: v_dual_add_nc_u32 v14, 1, v10
	s_delay_alu instid0(VALU_DEP_1)
	v_cndmask_b32_e32 v10, v10, v14, vcc_lo
.LBB0_23:
	s_or_b32 exec_lo, exec_lo, s2
	v_add_nc_u64_e32 v[16:17], s[6:7], v[12:13]
                                        ; implicit-def: $vgpr12_vgpr13
	s_mov_b32 s2, exec_lo
	s_delay_alu instid0(VALU_DEP_1) | instskip(NEXT) | instid1(VALU_DEP_1)
	v_dual_mov_b32 v14, 0 :: v_dual_bitop2_b32 v15, s27, v17 bitop3:0x54
	v_cmpx_ne_u64_e32 0, v[14:15]
	s_xor_b32 s3, exec_lo, s2
	s_cbranch_execz .LBB0_25
; %bb.24:
	s_ashr_i32 s18, s27, 31
	s_mov_b32 s43, 0
	s_mov_b32 s19, s18
	v_dual_mov_b32 v19, v14 :: v_dual_ashrrev_i32 v12, 31, v17
	s_add_nc_u64 s[34:35], s[26:27], s[18:19]
	v_mov_b32_e32 v21, v14
	s_xor_b64 s[34:35], s[34:35], s[18:19]
	s_delay_alu instid0(VALU_DEP_2)
	v_mov_b32_e32 v13, v12
	s_cvt_f32_u32 s2, s34
	s_cvt_f32_u32 s19, s35
	s_sub_nc_u64 s[38:39], 0, s[34:35]
	v_mov_b32_e32 v27, v14
	v_add_nc_u64_e32 v[16:17], v[16:17], v[12:13]
	s_fmamk_f32 s2, s19, 0x4f800000, s2
	v_mov_b32_e32 v15, v14
	s_delay_alu instid0(SALU_CYCLE_2) | instskip(NEXT) | instid1(VALU_DEP_2)
	v_s_rcp_f32 s2, s2
	v_xor_b32_e32 v18, v16, v12
	s_delay_alu instid0(VALU_DEP_3) | instskip(SKIP_1) | instid1(TRANS32_DEP_1)
	v_xor_b32_e32 v20, v17, v12
	v_xor_b32_e32 v12, s18, v12
	s_mul_f32 s2, s2, 0x5f7ffffc
	s_delay_alu instid0(SALU_CYCLE_3) | instskip(NEXT) | instid1(SALU_CYCLE_3)
	s_mul_f32 s19, s2, 0x2f800000
	s_trunc_f32 s19, s19
	s_delay_alu instid0(SALU_CYCLE_3) | instskip(SKIP_1) | instid1(SALU_CYCLE_2)
	s_fmamk_f32 s2, s19, 0xcf800000, s2
	s_cvt_u32_f32 s37, s19
	s_cvt_u32_f32 s36, s2
	s_delay_alu instid0(SALU_CYCLE_3) | instskip(NEXT) | instid1(SALU_CYCLE_1)
	s_mul_u64 s[40:41], s[38:39], s[36:37]
	s_mul_hi_u32 s45, s36, s41
	s_mul_i32 s44, s36, s41
	s_mul_hi_u32 s42, s36, s40
	s_mul_i32 s19, s37, s40
	s_add_nc_u64 s[44:45], s[42:43], s[44:45]
	s_mul_hi_u32 s2, s37, s40
	s_mul_hi_u32 s27, s37, s41
	s_add_co_u32 s19, s44, s19
	s_add_co_ci_u32 s42, s45, s2
	s_mul_i32 s40, s37, s41
	s_add_co_ci_u32 s41, s27, 0
	s_delay_alu instid0(SALU_CYCLE_1) | instskip(NEXT) | instid1(SALU_CYCLE_1)
	s_add_nc_u64 s[40:41], s[42:43], s[40:41]
	s_add_co_u32 s36, s36, s40
	s_cselect_b32 s2, -1, 0
	s_delay_alu instid0(SALU_CYCLE_1) | instskip(SKIP_1) | instid1(SALU_CYCLE_1)
	s_cmp_lg_u32 s2, 0
	s_add_co_ci_u32 s37, s37, s41
	s_mul_u64 s[38:39], s[38:39], s[36:37]
	s_delay_alu instid0(SALU_CYCLE_1)
	s_mul_hi_u32 s41, s36, s39
	s_mul_i32 s40, s36, s39
	s_mul_hi_u32 s42, s36, s38
	s_mul_i32 s19, s37, s38
	s_add_nc_u64 s[40:41], s[42:43], s[40:41]
	s_mul_hi_u32 s2, s37, s38
	s_mul_hi_u32 s27, s37, s39
	s_add_co_u32 s19, s40, s19
	s_add_co_ci_u32 s42, s41, s2
	s_mul_i32 s38, s37, s39
	s_add_co_ci_u32 s39, s27, 0
	s_delay_alu instid0(SALU_CYCLE_1) | instskip(NEXT) | instid1(SALU_CYCLE_1)
	s_add_nc_u64 s[38:39], s[42:43], s[38:39]
	s_add_co_u32 s2, s36, s38
	s_cselect_b32 s19, -1, 0
	v_mul_hi_u32 v26, v18, s2
	s_cmp_lg_u32 s19, 0
	s_add_co_ci_u32 s42, s37, s39
	s_mov_b64 s[36:37], 0xffffffff
	v_mul_u64_e32 v[22:23], s[42:43], v[18:19]
	s_and_b64 s[36:37], s[2:3], s[36:37]
	v_mul_u64_e32 v[24:25], s[42:43], v[20:21]
	v_mul_u64_e32 v[16:17], s[36:37], v[20:21]
	s_delay_alu instid0(VALU_DEP_3) | instskip(NEXT) | instid1(VALU_DEP_1)
	v_add_nc_u64_e32 v[22:23], v[26:27], v[22:23]
	v_add_co_u32 v13, vcc_lo, v22, v16
	s_delay_alu instid0(VALU_DEP_2) | instskip(SKIP_1) | instid1(VALU_DEP_1)
	v_add_co_ci_u32_e32 v14, vcc_lo, v23, v17, vcc_lo
	v_add_co_ci_u32_e32 v25, vcc_lo, 0, v25, vcc_lo
	v_add_nc_u64_e32 v[14:15], v[14:15], v[24:25]
	s_delay_alu instid0(VALU_DEP_1) | instskip(NEXT) | instid1(VALU_DEP_1)
	v_mul_u64_e32 v[16:17], s[34:35], v[14:15]
	v_sub_nc_u32_e32 v13, v20, v17
	s_delay_alu instid0(VALU_DEP_2) | instskip(NEXT) | instid1(VALU_DEP_1)
	v_sub_co_u32 v16, vcc_lo, v18, v16
	v_sub_co_ci_u32_e64 v20, null, v20, v17, vcc_lo
	s_delay_alu instid0(VALU_DEP_3) | instskip(NEXT) | instid1(VALU_DEP_3)
	v_subrev_co_ci_u32_e64 v13, null, s35, v13, vcc_lo
	v_sub_co_u32 v18, s2, v16, s34
	s_delay_alu instid0(VALU_DEP_1) | instskip(NEXT) | instid1(VALU_DEP_2)
	v_subrev_co_ci_u32_e64 v13, null, 0, v13, s2
	v_cmp_le_u32_e32 vcc_lo, s34, v18
	v_cndmask_b32_e64 v17, 0, -1, vcc_lo
	s_delay_alu instid0(VALU_DEP_3)
	v_cmp_le_u32_e32 vcc_lo, s35, v13
	v_cndmask_b32_e64 v18, 0, -1, vcc_lo
	v_cmp_le_u32_e32 vcc_lo, s34, v16
	v_cndmask_b32_e64 v21, 0, -1, vcc_lo
	;; [unrolled: 2-line block ×3, first 2 shown]
	v_cmp_eq_u32_e32 vcc_lo, s35, v13
	v_cndmask_b32_e32 v13, v18, v17, vcc_lo
	v_cmp_eq_u32_e32 vcc_lo, s35, v20
	v_add_nc_u64_e32 v[16:17], 2, v[14:15]
	v_add_nc_u64_e32 v[18:19], 1, v[14:15]
	v_cndmask_b32_e32 v20, v22, v21, vcc_lo
	v_cmp_ne_u32_e32 vcc_lo, 0, v13
	s_delay_alu instid0(VALU_DEP_2) | instskip(NEXT) | instid1(VALU_DEP_4)
	v_cmp_ne_u32_e64 s2, 0, v20
	v_dual_cndmask_b32 v16, v18, v16 :: v_dual_cndmask_b32 v13, v19, v17
                                        ; implicit-def: $vgpr18
	s_delay_alu instid0(VALU_DEP_1) | instskip(SKIP_1) | instid1(VALU_DEP_2)
	v_dual_cndmask_b32 v14, v14, v16, s2 :: v_dual_cndmask_b32 v15, v15, v13, s2
	v_mov_b32_e32 v13, v12
                                        ; implicit-def: $vgpr16_vgpr17
	v_xor_b32_e32 v14, v14, v12
	s_delay_alu instid0(VALU_DEP_3) | instskip(NEXT) | instid1(VALU_DEP_1)
	v_xor_b32_e32 v15, v15, v12
	v_sub_nc_u64_e32 v[12:13], v[14:15], v[12:13]
.LBB0_25:
	s_and_not1_saveexec_b32 s2, s3
	s_cbranch_execz .LBB0_27
; %bb.26:
	v_rcp_iflag_f32_e32 v12, v18
	s_sub_co_i32 s3, 0, s26
	v_nop
	s_delay_alu instid0(TRANS32_DEP_1) | instskip(NEXT) | instid1(VALU_DEP_1)
	v_mul_f32_e32 v12, 0x4f7ffffe, v12
	v_cvt_u32_f32_e32 v12, v12
	s_delay_alu instid0(VALU_DEP_1) | instskip(NEXT) | instid1(VALU_DEP_1)
	v_mul_lo_u32 v13, s3, v12
	v_mul_hi_u32 v13, v12, v13
	s_delay_alu instid0(VALU_DEP_1) | instskip(NEXT) | instid1(VALU_DEP_1)
	v_add_nc_u32_e32 v12, v12, v13
	v_mul_hi_u32 v12, v16, v12
	s_delay_alu instid0(VALU_DEP_1) | instskip(NEXT) | instid1(VALU_DEP_1)
	v_mul_lo_u32 v13, v12, s26
	v_dual_add_nc_u32 v14, 1, v12 :: v_dual_sub_nc_u32 v13, v16, v13
	s_delay_alu instid0(VALU_DEP_1) | instskip(SKIP_1) | instid1(VALU_DEP_2)
	v_subrev_nc_u32_e32 v15, s26, v13
	v_cmp_le_u32_e32 vcc_lo, s26, v13
	v_dual_cndmask_b32 v13, v13, v15 :: v_dual_cndmask_b32 v12, v12, v14
	s_delay_alu instid0(VALU_DEP_1) | instskip(NEXT) | instid1(VALU_DEP_2)
	v_cmp_le_u32_e32 vcc_lo, s26, v13
	v_dual_mov_b32 v13, 0 :: v_dual_add_nc_u32 v14, 1, v12
	s_delay_alu instid0(VALU_DEP_1)
	v_cndmask_b32_e32 v12, v12, v14, vcc_lo
.LBB0_27:
	s_or_b32 exec_lo, exec_lo, s2
	v_mul_u64_e32 v[14:15], s[16:17], v[6:7]
	s_add_nc_u64 s[2:3], s[20:21], s[24:25]
	v_mov_b32_e32 v20, 0
	s_delay_alu instid0(VALU_DEP_2) | instskip(NEXT) | instid1(VALU_DEP_3)
	v_not_b32_e32 v17, v15
	v_not_b32_e32 v16, v14
	s_delay_alu instid0(VALU_DEP_1) | instskip(SKIP_1) | instid1(VALU_DEP_1)
	v_add_nc_u64_e32 v[18:19], s[2:3], v[16:17]
                                        ; implicit-def: $vgpr16_vgpr17
	s_mov_b32 s2, exec_lo
	v_or_b32_e32 v21, s25, v19
	s_delay_alu instid0(VALU_DEP_1)
	v_cmpx_ne_u64_e32 0, v[20:21]
	s_xor_b32 s3, exec_lo, s2
	s_cbranch_execz .LBB0_29
; %bb.28:
	s_ashr_i32 s16, s25, 31
	s_mov_b32 s41, 0
	s_mov_b32 s17, s16
	v_dual_mov_b32 v25, v20 :: v_dual_ashrrev_i32 v16, 31, v19
	s_add_nc_u64 s[18:19], s[24:25], s[16:17]
	v_dual_mov_b32 v33, v20 :: v_dual_mov_b32 v21, v20
	s_xor_b64 s[18:19], s[18:19], s[16:17]
	s_delay_alu instid0(VALU_DEP_2) | instskip(SKIP_3) | instid1(VALU_DEP_1)
	v_mov_b32_e32 v17, v16
	s_cvt_f32_u32 s2, s18
	s_cvt_f32_u32 s17, s19
	s_sub_nc_u64 s[36:37], 0, s[18:19]
	v_add_nc_u64_e32 v[22:23], v[18:19], v[16:17]
	s_delay_alu instid0(SALU_CYCLE_1) | instskip(SKIP_1) | instid1(SALU_CYCLE_2)
	s_fmamk_f32 s2, s17, 0x4f800000, s2
	v_mov_b32_e32 v27, v20
	v_s_rcp_f32 s2, s2
	s_delay_alu instid0(VALU_DEP_2) | instskip(NEXT) | instid1(VALU_DEP_3)
	v_xor_b32_e32 v24, v22, v16
	v_xor_b32_e32 v26, v23, v16
	;; [unrolled: 1-line block ×3, first 2 shown]
	s_delay_alu instid0(TRANS32_DEP_1) | instskip(NEXT) | instid1(SALU_CYCLE_3)
	s_mul_f32 s2, s2, 0x5f7ffffc
	s_mul_f32 s17, s2, 0x2f800000
	s_delay_alu instid0(SALU_CYCLE_3) | instskip(NEXT) | instid1(SALU_CYCLE_3)
	s_trunc_f32 s17, s17
	s_fmamk_f32 s2, s17, 0xcf800000, s2
	s_cvt_u32_f32 s35, s17
	s_delay_alu instid0(SALU_CYCLE_2) | instskip(NEXT) | instid1(SALU_CYCLE_3)
	s_cvt_u32_f32 s34, s2
	s_mul_u64 s[38:39], s[36:37], s[34:35]
	s_delay_alu instid0(SALU_CYCLE_1)
	s_mul_hi_u32 s43, s34, s39
	s_mul_i32 s42, s34, s39
	s_mul_hi_u32 s40, s34, s38
	s_mul_i32 s17, s35, s38
	s_add_nc_u64 s[42:43], s[40:41], s[42:43]
	s_mul_hi_u32 s2, s35, s38
	s_mul_hi_u32 s21, s35, s39
	s_add_co_u32 s17, s42, s17
	s_add_co_ci_u32 s40, s43, s2
	s_mul_i32 s38, s35, s39
	s_add_co_ci_u32 s39, s21, 0
	s_delay_alu instid0(SALU_CYCLE_1) | instskip(NEXT) | instid1(SALU_CYCLE_1)
	s_add_nc_u64 s[38:39], s[40:41], s[38:39]
	s_add_co_u32 s34, s34, s38
	s_cselect_b32 s2, -1, 0
	s_delay_alu instid0(SALU_CYCLE_1) | instskip(SKIP_1) | instid1(SALU_CYCLE_1)
	s_cmp_lg_u32 s2, 0
	s_add_co_ci_u32 s35, s35, s39
	s_mul_u64 s[36:37], s[36:37], s[34:35]
	s_delay_alu instid0(SALU_CYCLE_1)
	s_mul_hi_u32 s39, s34, s37
	s_mul_i32 s38, s34, s37
	s_mul_hi_u32 s40, s34, s36
	s_mul_i32 s17, s35, s36
	s_add_nc_u64 s[38:39], s[40:41], s[38:39]
	s_mul_hi_u32 s2, s35, s36
	s_mul_hi_u32 s21, s35, s37
	s_add_co_u32 s17, s38, s17
	s_add_co_ci_u32 s40, s39, s2
	s_mul_i32 s36, s35, s37
	s_add_co_ci_u32 s37, s21, 0
	s_delay_alu instid0(SALU_CYCLE_1) | instskip(NEXT) | instid1(SALU_CYCLE_1)
	s_add_nc_u64 s[36:37], s[40:41], s[36:37]
	s_add_co_u32 s2, s34, s36
	s_cselect_b32 s17, -1, 0
	v_mul_hi_u32 v32, v24, s2
	s_cmp_lg_u32 s17, 0
	s_add_co_ci_u32 s40, s35, s37
	s_mov_b64 s[34:35], 0xffffffff
	v_mul_u64_e32 v[28:29], s[40:41], v[24:25]
	s_and_b64 s[34:35], s[2:3], s[34:35]
	v_mul_u64_e32 v[30:31], s[40:41], v[26:27]
	v_mul_u64_e32 v[22:23], s[34:35], v[26:27]
	s_delay_alu instid0(VALU_DEP_3) | instskip(NEXT) | instid1(VALU_DEP_1)
	v_add_nc_u64_e32 v[28:29], v[32:33], v[28:29]
	v_add_co_u32 v15, vcc_lo, v28, v22
	s_delay_alu instid0(VALU_DEP_2) | instskip(SKIP_1) | instid1(VALU_DEP_1)
	v_add_co_ci_u32_e32 v20, vcc_lo, v29, v23, vcc_lo
	v_add_co_ci_u32_e32 v31, vcc_lo, 0, v31, vcc_lo
	v_add_nc_u64_e32 v[20:21], v[20:21], v[30:31]
	s_delay_alu instid0(VALU_DEP_1) | instskip(NEXT) | instid1(VALU_DEP_1)
	v_mul_u64_e32 v[22:23], s[18:19], v[20:21]
	v_sub_nc_u32_e32 v15, v26, v23
	s_delay_alu instid0(VALU_DEP_2) | instskip(NEXT) | instid1(VALU_DEP_1)
	v_sub_co_u32 v17, vcc_lo, v24, v22
	v_sub_co_ci_u32_e64 v26, null, v26, v23, vcc_lo
	s_delay_alu instid0(VALU_DEP_3) | instskip(NEXT) | instid1(VALU_DEP_3)
	v_subrev_co_ci_u32_e64 v15, null, s19, v15, vcc_lo
	v_sub_co_u32 v22, s2, v17, s18
	v_add_nc_u64_e32 v[24:25], 1, v[20:21]
	s_delay_alu instid0(VALU_DEP_3) | instskip(NEXT) | instid1(VALU_DEP_3)
	v_subrev_co_ci_u32_e64 v15, null, 0, v15, s2
	v_cmp_le_u32_e32 vcc_lo, s18, v22
	v_cndmask_b32_e64 v22, 0, -1, vcc_lo
	s_delay_alu instid0(VALU_DEP_3)
	v_cmp_le_u32_e32 vcc_lo, s19, v15
	v_cndmask_b32_e64 v23, 0, -1, vcc_lo
	v_cmp_le_u32_e32 vcc_lo, s18, v17
	v_cndmask_b32_e64 v17, 0, -1, vcc_lo
	;; [unrolled: 2-line block ×3, first 2 shown]
	v_cmp_eq_u32_e32 vcc_lo, s19, v15
	v_cndmask_b32_e32 v15, v23, v22, vcc_lo
	v_cmp_eq_u32_e32 vcc_lo, s19, v26
	v_add_nc_u64_e32 v[22:23], 2, v[20:21]
	v_cndmask_b32_e32 v17, v27, v17, vcc_lo
	s_delay_alu instid0(VALU_DEP_4) | instskip(NEXT) | instid1(VALU_DEP_2)
	v_cmp_ne_u32_e32 vcc_lo, 0, v15
	v_cmp_ne_u32_e64 s2, 0, v17
	s_delay_alu instid0(VALU_DEP_4) | instskip(NEXT) | instid1(VALU_DEP_1)
	v_dual_cndmask_b32 v15, v25, v23, vcc_lo :: v_dual_cndmask_b32 v17, v24, v22, vcc_lo
	v_dual_cndmask_b32 v15, v21, v15, s2 :: v_dual_cndmask_b32 v20, v20, v17, s2
	s_delay_alu instid0(VALU_DEP_1) | instskip(NEXT) | instid1(VALU_DEP_2)
	v_dual_mov_b32 v17, v16 :: v_dual_bitop2_b32 v21, v15, v16 bitop3:0x14
	v_xor_b32_e32 v20, v20, v16
	s_delay_alu instid0(VALU_DEP_1)
	v_sub_nc_u64_e32 v[16:17], v[20:21], v[16:17]
.LBB0_29:
	s_or_saveexec_b32 s2, s3
	v_cvt_f32_u32_e32 v15, s24
	s_xor_b32 exec_lo, exec_lo, s2
	s_cbranch_execz .LBB0_31
; %bb.30:
	s_delay_alu instid0(VALU_DEP_1) | instskip(SKIP_2) | instid1(TRANS32_DEP_1)
	v_rcp_iflag_f32_e32 v16, v15
	s_sub_co_i32 s3, 0, s24
	v_nop
	v_mul_f32_e32 v16, 0x4f7ffffe, v16
	s_delay_alu instid0(VALU_DEP_1) | instskip(NEXT) | instid1(VALU_DEP_1)
	v_cvt_u32_f32_e32 v16, v16
	v_mul_lo_u32 v17, s3, v16
	s_delay_alu instid0(VALU_DEP_1) | instskip(NEXT) | instid1(VALU_DEP_1)
	v_mul_hi_u32 v17, v16, v17
	v_add_nc_u32_e32 v16, v16, v17
	s_delay_alu instid0(VALU_DEP_1) | instskip(NEXT) | instid1(VALU_DEP_1)
	v_mul_hi_u32 v16, v18, v16
	v_mul_lo_u32 v17, v16, s24
	s_delay_alu instid0(VALU_DEP_1) | instskip(NEXT) | instid1(VALU_DEP_1)
	v_sub_nc_u32_e32 v17, v18, v17
	v_subrev_nc_u32_e32 v21, s24, v17
	v_cmp_le_u32_e32 vcc_lo, s24, v17
	s_delay_alu instid0(VALU_DEP_2) | instskip(NEXT) | instid1(VALU_DEP_1)
	v_dual_cndmask_b32 v17, v17, v21 :: v_dual_add_nc_u32 v20, 1, v16
	v_cndmask_b32_e32 v16, v16, v20, vcc_lo
	s_delay_alu instid0(VALU_DEP_2) | instskip(NEXT) | instid1(VALU_DEP_2)
	v_cmp_le_u32_e32 vcc_lo, s24, v17
	v_dual_mov_b32 v17, 0 :: v_dual_add_nc_u32 v20, 1, v16
	s_delay_alu instid0(VALU_DEP_1)
	v_cndmask_b32_e32 v16, v16, v20, vcc_lo
.LBB0_31:
	s_or_b32 exec_lo, exec_lo, s2
	v_add_nc_u64_e32 v[20:21], s[4:5], v[18:19]
                                        ; implicit-def: $vgpr22_vgpr23
	s_mov_b32 s2, exec_lo
	s_delay_alu instid0(VALU_DEP_1) | instskip(NEXT) | instid1(VALU_DEP_1)
	v_dual_mov_b32 v18, 0 :: v_dual_bitop2_b32 v19, s25, v21 bitop3:0x54
	v_cmpx_ne_u64_e32 0, v[18:19]
	s_xor_b32 s3, exec_lo, s2
	s_cbranch_execz .LBB0_33
; %bb.32:
	s_ashr_i32 s16, s25, 31
	s_mov_b32 s41, 0
	s_mov_b32 s17, s16
	v_dual_mov_b32 v25, v18 :: v_dual_ashrrev_i32 v22, 31, v21
	s_add_nc_u64 s[18:19], s[24:25], s[16:17]
	v_dual_mov_b32 v33, v18 :: v_dual_mov_b32 v19, v18
	s_xor_b64 s[18:19], s[18:19], s[16:17]
	s_delay_alu instid0(VALU_DEP_2) | instskip(SKIP_3) | instid1(VALU_DEP_1)
	v_mov_b32_e32 v23, v22
	s_cvt_f32_u32 s2, s18
	s_cvt_f32_u32 s17, s19
	s_sub_nc_u64 s[36:37], 0, s[18:19]
	v_add_nc_u64_e32 v[20:21], v[20:21], v[22:23]
	s_delay_alu instid0(SALU_CYCLE_1) | instskip(SKIP_1) | instid1(SALU_CYCLE_2)
	s_fmamk_f32 s2, s17, 0x4f800000, s2
	v_mov_b32_e32 v27, v18
	v_s_rcp_f32 s2, s2
	s_delay_alu instid0(VALU_DEP_2) | instskip(NEXT) | instid1(VALU_DEP_3)
	v_xor_b32_e32 v24, v20, v22
	v_xor_b32_e32 v26, v21, v22
	s_delay_alu instid0(TRANS32_DEP_1) | instskip(NEXT) | instid1(SALU_CYCLE_3)
	s_mul_f32 s2, s2, 0x5f7ffffc
	s_mul_f32 s17, s2, 0x2f800000
	s_delay_alu instid0(SALU_CYCLE_3) | instskip(NEXT) | instid1(SALU_CYCLE_3)
	s_trunc_f32 s17, s17
	s_fmamk_f32 s2, s17, 0xcf800000, s2
	s_cvt_u32_f32 s35, s17
	s_delay_alu instid0(SALU_CYCLE_2) | instskip(NEXT) | instid1(SALU_CYCLE_3)
	s_cvt_u32_f32 s34, s2
	s_mul_u64 s[38:39], s[36:37], s[34:35]
	s_delay_alu instid0(SALU_CYCLE_1)
	s_mul_hi_u32 s43, s34, s39
	s_mul_i32 s42, s34, s39
	s_mul_hi_u32 s40, s34, s38
	s_mul_i32 s17, s35, s38
	s_add_nc_u64 s[42:43], s[40:41], s[42:43]
	s_mul_hi_u32 s2, s35, s38
	s_mul_hi_u32 s21, s35, s39
	s_add_co_u32 s17, s42, s17
	s_add_co_ci_u32 s40, s43, s2
	s_mul_i32 s38, s35, s39
	s_add_co_ci_u32 s39, s21, 0
	s_delay_alu instid0(SALU_CYCLE_1) | instskip(NEXT) | instid1(SALU_CYCLE_1)
	s_add_nc_u64 s[38:39], s[40:41], s[38:39]
	s_add_co_u32 s34, s34, s38
	s_cselect_b32 s2, -1, 0
	s_delay_alu instid0(SALU_CYCLE_1) | instskip(SKIP_1) | instid1(SALU_CYCLE_1)
	s_cmp_lg_u32 s2, 0
	s_add_co_ci_u32 s35, s35, s39
	s_mul_u64 s[36:37], s[36:37], s[34:35]
	s_delay_alu instid0(SALU_CYCLE_1)
	s_mul_hi_u32 s39, s34, s37
	s_mul_i32 s38, s34, s37
	s_mul_hi_u32 s40, s34, s36
	s_mul_i32 s17, s35, s36
	s_add_nc_u64 s[38:39], s[40:41], s[38:39]
	s_mul_hi_u32 s2, s35, s36
	s_mul_hi_u32 s21, s35, s37
	s_add_co_u32 s17, s38, s17
	s_add_co_ci_u32 s40, s39, s2
	s_mul_i32 s36, s35, s37
	s_add_co_ci_u32 s37, s21, 0
	s_delay_alu instid0(SALU_CYCLE_1) | instskip(NEXT) | instid1(SALU_CYCLE_1)
	s_add_nc_u64 s[36:37], s[40:41], s[36:37]
	s_add_co_u32 s2, s34, s36
	s_cselect_b32 s17, -1, 0
	v_mul_hi_u32 v32, v24, s2
	s_cmp_lg_u32 s17, 0
	s_add_co_ci_u32 s40, s35, s37
	s_mov_b64 s[34:35], 0xffffffff
	v_mul_u64_e32 v[28:29], s[40:41], v[24:25]
	s_and_b64 s[34:35], s[2:3], s[34:35]
	v_mul_u64_e32 v[30:31], s[40:41], v[26:27]
	v_mul_u64_e32 v[20:21], s[34:35], v[26:27]
	s_delay_alu instid0(VALU_DEP_3) | instskip(NEXT) | instid1(VALU_DEP_1)
	v_add_nc_u64_e32 v[28:29], v[32:33], v[28:29]
	v_add_co_u32 v15, vcc_lo, v28, v20
	s_delay_alu instid0(VALU_DEP_2) | instskip(SKIP_1) | instid1(VALU_DEP_1)
	v_add_co_ci_u32_e32 v18, vcc_lo, v29, v21, vcc_lo
	v_add_co_ci_u32_e32 v31, vcc_lo, 0, v31, vcc_lo
	v_add_nc_u64_e32 v[18:19], v[18:19], v[30:31]
	s_delay_alu instid0(VALU_DEP_1) | instskip(NEXT) | instid1(VALU_DEP_1)
	v_mul_u64_e32 v[20:21], s[18:19], v[18:19]
	v_sub_nc_u32_e32 v15, v26, v21
	s_delay_alu instid0(VALU_DEP_2) | instskip(NEXT) | instid1(VALU_DEP_1)
	v_sub_co_u32 v20, vcc_lo, v24, v20
	v_sub_co_ci_u32_e64 v26, null, v26, v21, vcc_lo
	s_delay_alu instid0(VALU_DEP_3) | instskip(NEXT) | instid1(VALU_DEP_3)
	v_subrev_co_ci_u32_e64 v15, null, s19, v15, vcc_lo
	v_sub_co_u32 v23, s2, v20, s18
	v_add_nc_u64_e32 v[24:25], 1, v[18:19]
	s_delay_alu instid0(VALU_DEP_3) | instskip(NEXT) | instid1(VALU_DEP_3)
	v_subrev_co_ci_u32_e64 v15, null, 0, v15, s2
	v_cmp_le_u32_e32 vcc_lo, s18, v23
	v_cndmask_b32_e64 v21, 0, -1, vcc_lo
	s_delay_alu instid0(VALU_DEP_3)
	v_cmp_le_u32_e32 vcc_lo, s19, v15
	v_cndmask_b32_e64 v23, 0, -1, vcc_lo
	v_cmp_le_u32_e32 vcc_lo, s18, v20
	v_cndmask_b32_e64 v27, 0, -1, vcc_lo
	;; [unrolled: 2-line block ×3, first 2 shown]
	v_cmp_eq_u32_e32 vcc_lo, s19, v15
	v_cndmask_b32_e32 v15, v23, v21, vcc_lo
	v_cmp_eq_u32_e32 vcc_lo, s19, v26
	v_add_nc_u64_e32 v[20:21], 2, v[18:19]
	v_cndmask_b32_e32 v23, v28, v27, vcc_lo
	s_delay_alu instid0(VALU_DEP_4) | instskip(NEXT) | instid1(VALU_DEP_2)
	v_cmp_ne_u32_e32 vcc_lo, 0, v15
	v_cmp_ne_u32_e64 s2, 0, v23
	s_delay_alu instid0(VALU_DEP_4) | instskip(NEXT) | instid1(VALU_DEP_1)
	v_dual_cndmask_b32 v15, v25, v21, vcc_lo :: v_dual_cndmask_b32 v21, v24, v20, vcc_lo
	v_dual_cndmask_b32 v15, v19, v15, s2 :: v_dual_bitop2_b32 v20, s16, v22 bitop3:0x14
	s_delay_alu instid0(VALU_DEP_1) | instskip(NEXT) | instid1(VALU_DEP_2)
	v_dual_cndmask_b32 v18, v18, v21, s2 :: v_dual_mov_b32 v21, v20
	v_xor_b32_e32 v19, v15, v20
	s_delay_alu instid0(VALU_DEP_2) | instskip(NEXT) | instid1(VALU_DEP_1)
	v_xor_b32_e32 v18, v18, v20
                                        ; implicit-def: $vgpr15
	v_sub_nc_u64_e32 v[22:23], v[18:19], v[20:21]
                                        ; implicit-def: $vgpr20_vgpr21
.LBB0_33:
	s_or_saveexec_b32 s2, s3
	s_load_b64 s[34:35], s[0:1], 0x8
	s_xor_b32 exec_lo, exec_lo, s2
	s_cbranch_execz .LBB0_35
; %bb.34:
	v_rcp_iflag_f32_e32 v15, v15
	s_sub_co_i32 s3, 0, s24
	v_mov_b32_e32 v23, 0
	s_delay_alu instid0(TRANS32_DEP_1) | instskip(NEXT) | instid1(VALU_DEP_1)
	v_mul_f32_e32 v15, 0x4f7ffffe, v15
	v_cvt_u32_f32_e32 v15, v15
	s_delay_alu instid0(VALU_DEP_1) | instskip(NEXT) | instid1(VALU_DEP_1)
	v_mul_lo_u32 v18, s3, v15
	v_mul_hi_u32 v18, v15, v18
	s_delay_alu instid0(VALU_DEP_1) | instskip(NEXT) | instid1(VALU_DEP_1)
	v_add_nc_u32_e32 v15, v15, v18
	v_mul_hi_u32 v15, v20, v15
	s_delay_alu instid0(VALU_DEP_1) | instskip(NEXT) | instid1(VALU_DEP_1)
	v_mul_lo_u32 v18, v15, s24
	v_dual_add_nc_u32 v19, 1, v15 :: v_dual_sub_nc_u32 v18, v20, v18
	s_delay_alu instid0(VALU_DEP_1) | instskip(SKIP_1) | instid1(VALU_DEP_2)
	v_subrev_nc_u32_e32 v20, s24, v18
	v_cmp_le_u32_e32 vcc_lo, s24, v18
	v_dual_cndmask_b32 v18, v18, v20 :: v_dual_cndmask_b32 v15, v15, v19
	s_delay_alu instid0(VALU_DEP_1) | instskip(NEXT) | instid1(VALU_DEP_2)
	v_cmp_le_u32_e32 vcc_lo, s24, v18
	v_add_nc_u32_e32 v19, 1, v15
	s_delay_alu instid0(VALU_DEP_1)
	v_cndmask_b32_e32 v22, v15, v19, vcc_lo
.LBB0_35:
	s_or_b32 exec_lo, exec_lo, s2
	v_max_i64 v[10:11], v[10:11], 0
	s_mul_u64 s[2:3], s[28:29], s[14:15]
	v_max_i64 v[16:17], v[16:17], 0
	v_min_i64 v[12:13], s[14:15], v[12:13]
	v_mul_u64_e32 v[20:21], s[28:29], v[4:5]
	s_load_b64 s[16:17], s[0:1], 0x0
	v_sub_nc_u64_e64 v[8:9], v[8:9], s[22:23]
	s_mul_u64 s[14:15], s[14:15], s[12:13]
	s_mov_b64 s[18:19], 0
	s_mov_b32 s21, s24
	s_lshl_b64 s[14:15], s[14:15], 1
	v_mad_nc_u64_u32 v[18:19], s2, v2, v[10:11]
	v_mad_u32 v26, s24, v16, v14
	v_cmp_lt_i64_e32 vcc_lo, v[10:11], v[12:13]
	s_delay_alu instid0(VALU_DEP_3) | instskip(NEXT) | instid1(VALU_DEP_1)
	v_mad_u32 v15, s3, v2, v19
	v_mad_u32 v19, s2, v3, v15
	v_lshlrev_b64_e32 v[14:15], 1, v[16:17]
	s_delay_alu instid0(VALU_DEP_2) | instskip(SKIP_2) | instid1(VALU_DEP_2)
	v_mul_u64_e32 v[24:25], s[12:13], v[18:19]
	v_min_i64 v[18:19], s[12:13], v[22:23]
	s_lshl_b64 s[12:13], s[12:13], 1
	v_lshl_add_u64 v[22:23], v[24:25], 1, v[14:15]
	v_mov_b32_e32 v14, 0
	s_delay_alu instid0(VALU_DEP_3)
	v_cmp_lt_i64_e64 s2, v[16:17], v[18:19]
	v_subrev_nc_u32_e32 v15, s20, v26
	s_mov_b32 s20, 0
	s_wait_kmcnt 0x0
	v_add_nc_u64_e32 v[22:23], s[34:35], v[22:23]
	v_mov_b32_e32 v9, v14
	s_branch .LBB0_38
.LBB0_36:                               ;   in Loop: Header=BB0_38 Depth=1
	s_or_b32 exec_lo, exec_lo, s23
.LBB0_37:                               ;   in Loop: Header=BB0_38 Depth=1
	s_delay_alu instid0(SALU_CYCLE_1) | instskip(NEXT) | instid1(VALU_DEP_1)
	s_or_b32 exec_lo, exec_lo, s22
	v_add_nc_u64_e32 v[22:23], s[14:15], v[22:23]
	s_add_nc_u64 s[18:19], s[18:19], 1
	s_delay_alu instid0(SALU_CYCLE_1)
	s_cmp_eq_u64 s[18:19], s[28:29]
	s_cbranch_scc1 .LBB0_49
.LBB0_38:                               ; =>This Loop Header: Depth=1
                                        ;     Child Loop BB0_41 Depth 2
                                        ;       Child Loop BB0_43 Depth 3
	s_and_saveexec_b32 s22, vcc_lo
	s_cbranch_execz .LBB0_37
; %bb.39:                               ;   in Loop: Header=BB0_38 Depth=1
	v_add_nc_u64_e32 v[24:25], s[18:19], v[20:21]
	s_delay_alu instid0(VALU_DEP_2) | instskip(SKIP_2) | instid1(VALU_DEP_3)
	v_mov_b64_e32 v[26:27], v[22:23]
	v_mov_b64_e32 v[28:29], v[10:11]
	s_mov_b32 s23, 0
	v_mul_u64_e32 v[24:25], s[6:7], v[24:25]
	s_branch .LBB0_41
.LBB0_40:                               ;   in Loop: Header=BB0_41 Depth=2
	s_or_b32 exec_lo, exec_lo, s24
	v_add_nc_u64_e32 v[28:29], 1, v[28:29]
	v_add_nc_u64_e32 v[26:27], s[12:13], v[26:27]
	s_delay_alu instid0(VALU_DEP_2) | instskip(SKIP_1) | instid1(SALU_CYCLE_1)
	v_cmp_ge_i64_e64 s3, v[28:29], v[12:13]
	s_or_b32 s23, s3, s23
	s_and_not1_b32 exec_lo, exec_lo, s23
	s_cbranch_execz .LBB0_36
.LBB0_41:                               ;   Parent Loop BB0_38 Depth=1
                                        ; =>  This Loop Header: Depth=2
                                        ;       Child Loop BB0_43 Depth 3
	s_and_saveexec_b32 s24, s2
	s_cbranch_execz .LBB0_40
; %bb.42:                               ;   in Loop: Header=BB0_41 Depth=2
	s_delay_alu instid0(VALU_DEP_2) | instskip(SKIP_3) | instid1(VALU_DEP_3)
	v_mad_u32 v30, v28, s26, v8
	v_mov_b64_e32 v[32:33], v[14:15]
	v_mov_b64_e32 v[36:37], v[16:17]
	s_mov_b32 s25, 0
	v_ashrrev_i32_e32 v31, 31, v30
	s_delay_alu instid0(VALU_DEP_1) | instskip(NEXT) | instid1(VALU_DEP_1)
	v_add_nc_u64_e32 v[30:31], v[30:31], v[24:25]
	v_mul_u64_e32 v[34:35], s[4:5], v[30:31]
	v_mov_b64_e32 v[30:31], v[26:27]
	s_delay_alu instid0(VALU_DEP_2)
	v_lshl_add_u64 v[34:35], v[34:35], 2, s[16:17]
.LBB0_43:                               ;   Parent Loop BB0_38 Depth=1
                                        ;     Parent Loop BB0_41 Depth=2
                                        ; =>    This Inner Loop Header: Depth=3
	v_ashrrev_i64 v[38:39], 30, v[32:33]
	v_add_nc_u64_e32 v[36:37], 1, v[36:37]
	v_add_nc_u64_e32 v[32:33], s[20:21], v[32:33]
	s_delay_alu instid0(VALU_DEP_3) | instskip(NEXT) | instid1(VALU_DEP_3)
	v_add_nc_u64_e32 v[38:39], v[34:35], v[38:39]
	v_cmp_ge_i64_e64 s3, v[36:37], v[18:19]
	global_load_u16 v40, v[30:31], off
	global_load_b32 v41, v[38:39], off
	s_wait_xcnt 0x1
	v_add_nc_u64_e32 v[30:31], 2, v[30:31]
	s_or_b32 s25, s3, s25
	s_wait_loadcnt 0x0
	v_fma_mix_f32 v9, v41, v40, v9 op_sel_hi:[0,1,0]
	s_and_not1_b32 exec_lo, exec_lo, s25
	s_cbranch_execnz .LBB0_43
; %bb.44:                               ;   in Loop: Header=BB0_41 Depth=2
	s_or_b32 exec_lo, exec_lo, s25
	s_branch .LBB0_40
.LBB0_45:
                                        ; implicit-def: $vgpr8_vgpr9
	s_branch .LBB0_3
.LBB0_46:
                                        ; implicit-def: $vgpr10_vgpr11
	s_branch .LBB0_10
.LBB0_47:
                                        ; implicit-def: $vgpr4_vgpr5
	s_branch .LBB0_17
.LBB0_48:
	v_mov_b32_e32 v9, 0
.LBB0_49:
	v_mad_nc_u64_u32 v[2:3], v4, s30, v[2:3]
	s_load_b64 s[0:1], s[0:1], 0x10
	s_delay_alu instid0(VALU_DEP_1) | instskip(NEXT) | instid1(VALU_DEP_2)
	v_mad_u32 v3, v5, s30, v3
	v_mad_nc_u64_u32 v[0:1], v2, s10, v[0:1]
	s_delay_alu instid0(VALU_DEP_2) | instskip(NEXT) | instid1(VALU_DEP_1)
	v_mad_u32 v3, v4, s31, v3
	v_mad_u32 v1, v3, s10, v1
	s_delay_alu instid0(VALU_DEP_1) | instskip(NEXT) | instid1(VALU_DEP_1)
	v_mad_u32 v1, v2, s11, v1
	v_mul_u64_e32 v[0:1], s[8:9], v[0:1]
	s_wait_kmcnt 0x0
	s_delay_alu instid0(VALU_DEP_1) | instskip(NEXT) | instid1(VALU_DEP_1)
	v_lshl_add_u64 v[0:1], v[0:1], 2, s[0:1]
	v_lshl_add_u64 v[0:1], v[6:7], 2, v[0:1]
	global_store_b32 v[0:1], v9, off
.LBB0_50:
	s_endpgm
	.section	.rodata,"a",@progbits
	.p2align	6, 0x0
	.amdhsa_kernel _ZL13conv2d_kernelI6__half11whcn_layoutEvPKfPKT_Pf11conv_params
		.amdhsa_group_segment_fixed_size 0
		.amdhsa_private_segment_fixed_size 0
		.amdhsa_kernarg_size 408
		.amdhsa_user_sgpr_count 2
		.amdhsa_user_sgpr_dispatch_ptr 0
		.amdhsa_user_sgpr_queue_ptr 0
		.amdhsa_user_sgpr_kernarg_segment_ptr 1
		.amdhsa_user_sgpr_dispatch_id 0
		.amdhsa_user_sgpr_kernarg_preload_length 0
		.amdhsa_user_sgpr_kernarg_preload_offset 0
		.amdhsa_user_sgpr_private_segment_size 0
		.amdhsa_wavefront_size32 1
		.amdhsa_uses_dynamic_stack 0
		.amdhsa_enable_private_segment 0
		.amdhsa_system_sgpr_workgroup_id_x 1
		.amdhsa_system_sgpr_workgroup_id_y 0
		.amdhsa_system_sgpr_workgroup_id_z 0
		.amdhsa_system_sgpr_workgroup_info 0
		.amdhsa_system_vgpr_workitem_id 0
		.amdhsa_next_free_vgpr 42
		.amdhsa_next_free_sgpr 49
		.amdhsa_named_barrier_count 0
		.amdhsa_reserve_vcc 1
		.amdhsa_float_round_mode_32 0
		.amdhsa_float_round_mode_16_64 0
		.amdhsa_float_denorm_mode_32 3
		.amdhsa_float_denorm_mode_16_64 3
		.amdhsa_fp16_overflow 0
		.amdhsa_memory_ordered 1
		.amdhsa_forward_progress 1
		.amdhsa_inst_pref_size 59
		.amdhsa_round_robin_scheduling 0
		.amdhsa_exception_fp_ieee_invalid_op 0
		.amdhsa_exception_fp_denorm_src 0
		.amdhsa_exception_fp_ieee_div_zero 0
		.amdhsa_exception_fp_ieee_overflow 0
		.amdhsa_exception_fp_ieee_underflow 0
		.amdhsa_exception_fp_ieee_inexact 0
		.amdhsa_exception_int_div_zero 0
	.end_amdhsa_kernel
	.section	.text._ZL13conv2d_kernelI6__half11whcn_layoutEvPKfPKT_Pf11conv_params,"axG",@progbits,_ZL13conv2d_kernelI6__half11whcn_layoutEvPKfPKT_Pf11conv_params,comdat
.Lfunc_end0:
	.size	_ZL13conv2d_kernelI6__half11whcn_layoutEvPKfPKT_Pf11conv_params, .Lfunc_end0-_ZL13conv2d_kernelI6__half11whcn_layoutEvPKfPKT_Pf11conv_params
                                        ; -- End function
	.set _ZL13conv2d_kernelI6__half11whcn_layoutEvPKfPKT_Pf11conv_params.num_vgpr, 42
	.set _ZL13conv2d_kernelI6__half11whcn_layoutEvPKfPKT_Pf11conv_params.num_agpr, 0
	.set _ZL13conv2d_kernelI6__half11whcn_layoutEvPKfPKT_Pf11conv_params.numbered_sgpr, 49
	.set _ZL13conv2d_kernelI6__half11whcn_layoutEvPKfPKT_Pf11conv_params.num_named_barrier, 0
	.set _ZL13conv2d_kernelI6__half11whcn_layoutEvPKfPKT_Pf11conv_params.private_seg_size, 0
	.set _ZL13conv2d_kernelI6__half11whcn_layoutEvPKfPKT_Pf11conv_params.uses_vcc, 1
	.set _ZL13conv2d_kernelI6__half11whcn_layoutEvPKfPKT_Pf11conv_params.uses_flat_scratch, 0
	.set _ZL13conv2d_kernelI6__half11whcn_layoutEvPKfPKT_Pf11conv_params.has_dyn_sized_stack, 0
	.set _ZL13conv2d_kernelI6__half11whcn_layoutEvPKfPKT_Pf11conv_params.has_recursion, 0
	.set _ZL13conv2d_kernelI6__half11whcn_layoutEvPKfPKT_Pf11conv_params.has_indirect_call, 0
	.section	.AMDGPU.csdata,"",@progbits
; Kernel info:
; codeLenInByte = 7548
; TotalNumSgprs: 51
; NumVgprs: 42
; ScratchSize: 0
; MemoryBound: 0
; FloatMode: 240
; IeeeMode: 1
; LDSByteSize: 0 bytes/workgroup (compile time only)
; SGPRBlocks: 0
; VGPRBlocks: 2
; NumSGPRsForWavesPerEU: 51
; NumVGPRsForWavesPerEU: 42
; NamedBarCnt: 0
; Occupancy: 16
; WaveLimiterHint : 0
; COMPUTE_PGM_RSRC2:SCRATCH_EN: 0
; COMPUTE_PGM_RSRC2:USER_SGPR: 2
; COMPUTE_PGM_RSRC2:TRAP_HANDLER: 0
; COMPUTE_PGM_RSRC2:TGID_X_EN: 1
; COMPUTE_PGM_RSRC2:TGID_Y_EN: 0
; COMPUTE_PGM_RSRC2:TGID_Z_EN: 0
; COMPUTE_PGM_RSRC2:TIDIG_COMP_CNT: 0
	.section	.text._ZL13conv2d_kernelIf11whcn_layoutEvPKfPKT_Pf11conv_params,"axG",@progbits,_ZL13conv2d_kernelIf11whcn_layoutEvPKfPKT_Pf11conv_params,comdat
	.globl	_ZL13conv2d_kernelIf11whcn_layoutEvPKfPKT_Pf11conv_params ; -- Begin function _ZL13conv2d_kernelIf11whcn_layoutEvPKfPKT_Pf11conv_params
	.p2align	8
	.type	_ZL13conv2d_kernelIf11whcn_layoutEvPKfPKT_Pf11conv_params,@function
_ZL13conv2d_kernelIf11whcn_layoutEvPKfPKT_Pf11conv_params: ; @_ZL13conv2d_kernelIf11whcn_layoutEvPKfPKT_Pf11conv_params
; %bb.0:
	s_clause 0x1
	s_load_b32 s4, s[0:1], 0xa4
	s_load_b64 s[2:3], s[0:1], 0x90
	s_bfe_u32 s5, ttmp6, 0x4000c
	s_and_b32 s6, ttmp6, 15
	s_add_co_i32 s5, s5, 1
	s_getreg_b32 s7, hwreg(HW_REG_IB_STS2, 6, 4)
	s_mul_i32 s5, ttmp9, s5
	v_mov_b32_e32 v7, 0
	s_add_co_i32 s6, s6, s5
	s_wait_kmcnt 0x0
	s_and_b32 s4, s4, 0xffff
	s_cmp_eq_u32 s7, 0
	s_cselect_b32 s5, ttmp9, s6
	s_delay_alu instid0(SALU_CYCLE_1) | instskip(NEXT) | instid1(VALU_DEP_1)
	v_mad_u32 v6, s5, s4, v0
	v_cmp_gt_i64_e32 vcc_lo, s[2:3], v[6:7]
	s_and_saveexec_b32 s2, vcc_lo
	s_cbranch_execz .LBB1_50
; %bb.1:
	s_add_nc_u64 s[34:35], s[0:1], 24
	v_add_nc_u64_e32 v[4:5], 0, v[6:7]
	s_load_b512 s[4:19], s[34:35], 0x0
	s_wait_kmcnt 0x0
	s_and_b64 s[2:3], s[8:9], 0xffffffff00000000
	s_delay_alu instid0(SALU_CYCLE_1)
	s_cmp_lg_u64 s[2:3], 0
	s_cbranch_scc0 .LBB1_45
; %bb.2:
	s_ashr_i32 s20, s9, 31
	v_dual_mov_b32 v1, 0 :: v_dual_mov_b32 v0, v4
	s_mov_b32 s21, s20
	s_delay_alu instid0(SALU_CYCLE_1) | instskip(NEXT) | instid1(SALU_CYCLE_1)
	s_add_nc_u64 s[2:3], s[8:9], s[20:21]
	s_xor_b64 s[22:23], s[2:3], s[20:21]
	s_delay_alu instid0(SALU_CYCLE_1) | instskip(SKIP_2) | instid1(SALU_CYCLE_2)
	s_cvt_f32_u32 s2, s22
	s_cvt_f32_u32 s3, s23
	s_sub_nc_u64 s[26:27], 0, s[22:23]
	s_fmamk_f32 s2, s3, 0x4f800000, s2
	s_delay_alu instid0(SALU_CYCLE_3) | instskip(NEXT) | instid1(TRANS32_DEP_1)
	v_s_rcp_f32 s2, s2
	s_mul_f32 s2, s2, 0x5f7ffffc
	s_delay_alu instid0(SALU_CYCLE_3) | instskip(NEXT) | instid1(SALU_CYCLE_3)
	s_mul_f32 s3, s2, 0x2f800000
	s_trunc_f32 s3, s3
	s_delay_alu instid0(SALU_CYCLE_3) | instskip(SKIP_2) | instid1(SALU_CYCLE_1)
	s_fmamk_f32 s2, s3, 0xcf800000, s2
	s_cvt_u32_f32 s25, s3
	s_mov_b32 s3, 0
	s_cvt_u32_f32 s24, s2
	s_delay_alu instid0(SALU_CYCLE_3) | instskip(NEXT) | instid1(SALU_CYCLE_1)
	s_mul_u64 s[28:29], s[26:27], s[24:25]
	s_mul_hi_u32 s31, s24, s29
	s_mul_i32 s30, s24, s29
	s_mul_hi_u32 s2, s24, s28
	s_mul_i32 s33, s25, s28
	s_add_nc_u64 s[30:31], s[2:3], s[30:31]
	s_mul_hi_u32 s21, s25, s28
	s_mul_hi_u32 s36, s25, s29
	s_add_co_u32 s2, s30, s33
	s_add_co_ci_u32 s2, s31, s21
	s_mul_i32 s28, s25, s29
	s_add_co_ci_u32 s29, s36, 0
	s_delay_alu instid0(SALU_CYCLE_1) | instskip(NEXT) | instid1(SALU_CYCLE_1)
	s_add_nc_u64 s[28:29], s[2:3], s[28:29]
	s_add_co_u32 s24, s24, s28
	s_cselect_b32 s2, -1, 0
	s_delay_alu instid0(SALU_CYCLE_1) | instskip(SKIP_1) | instid1(SALU_CYCLE_1)
	s_cmp_lg_u32 s2, 0
	s_add_co_ci_u32 s25, s25, s29
	s_mul_u64 s[26:27], s[26:27], s[24:25]
	s_delay_alu instid0(SALU_CYCLE_1)
	s_mul_hi_u32 s29, s24, s27
	s_mul_i32 s28, s24, s27
	s_mul_hi_u32 s2, s24, s26
	s_mul_i32 s30, s25, s26
	s_add_nc_u64 s[28:29], s[2:3], s[28:29]
	s_mul_hi_u32 s21, s25, s26
	s_mul_hi_u32 s31, s25, s27
	s_add_co_u32 s2, s28, s30
	s_add_co_ci_u32 s2, s29, s21
	s_mul_i32 s26, s25, s27
	s_add_co_ci_u32 s27, s31, 0
	s_delay_alu instid0(SALU_CYCLE_1) | instskip(NEXT) | instid1(SALU_CYCLE_1)
	s_add_nc_u64 s[26:27], s[2:3], s[26:27]
	s_add_co_u32 s24, s24, s26
	s_cselect_b32 s2, -1, 0
	s_delay_alu instid0(SALU_CYCLE_1)
	s_cmp_lg_u32 s2, 0
	s_add_co_ci_u32 s2, s25, s27
	s_mov_b64 s[26:27], 0xffffffff
	v_nop
	v_mul_u64_e32 v[2:3], s[2:3], v[0:1]
	v_mul_hi_u32 v0, v4, s24
	s_and_b64 s[24:25], s[24:25], s[26:27]
	s_delay_alu instid0(VALU_DEP_1) | instskip(SKIP_1) | instid1(VALU_DEP_1)
	v_add_nc_u64_e32 v[2:3], v[0:1], v[2:3]
	v_mov_b32_e32 v0, v5
	v_mul_u64_e32 v[8:9], s[24:25], v[0:1]
	v_mul_u64_e32 v[10:11], s[2:3], v[0:1]
	s_delay_alu instid0(VALU_DEP_2) | instskip(NEXT) | instid1(VALU_DEP_3)
	v_add_co_u32 v0, vcc_lo, v2, v8
	v_add_co_ci_u32_e32 v0, vcc_lo, v3, v9, vcc_lo
	s_delay_alu instid0(VALU_DEP_3) | instskip(NEXT) | instid1(VALU_DEP_1)
	v_add_co_ci_u32_e32 v11, vcc_lo, 0, v11, vcc_lo
	v_add_nc_u64_e32 v[0:1], v[0:1], v[10:11]
	s_delay_alu instid0(VALU_DEP_1) | instskip(NEXT) | instid1(VALU_DEP_1)
	v_mul_u64_e32 v[2:3], s[22:23], v[0:1]
	v_sub_nc_u32_e32 v8, v5, v3
	s_delay_alu instid0(VALU_DEP_2) | instskip(NEXT) | instid1(VALU_DEP_1)
	v_sub_co_u32 v2, vcc_lo, v4, v2
	v_sub_co_ci_u32_e64 v13, null, v5, v3, vcc_lo
	s_delay_alu instid0(VALU_DEP_3) | instskip(NEXT) | instid1(VALU_DEP_3)
	v_subrev_co_ci_u32_e64 v8, null, s23, v8, vcc_lo
	v_sub_co_u32 v10, s2, v2, s22
	v_cmp_le_u32_e32 vcc_lo, s22, v2
	s_delay_alu instid0(VALU_DEP_3) | instskip(NEXT) | instid1(VALU_DEP_3)
	v_subrev_co_ci_u32_e64 v11, null, 0, v8, s2
	v_cmp_le_u32_e64 s2, s22, v10
	v_add_nc_u64_e32 v[8:9], 2, v[0:1]
	v_cndmask_b32_e64 v14, 0, -1, vcc_lo
	s_delay_alu instid0(VALU_DEP_4) | instskip(SKIP_3) | instid1(VALU_DEP_1)
	v_cmp_eq_u32_e32 vcc_lo, s23, v11
	v_add_nc_u64_e32 v[2:3], 1, v[0:1]
	v_cndmask_b32_e64 v10, 0, -1, s2
	v_cmp_le_u32_e64 s2, s23, v11
	v_cndmask_b32_e64 v12, 0, -1, s2
	v_cmp_eq_u32_e64 s2, s23, v13
	s_delay_alu instid0(VALU_DEP_2) | instskip(SKIP_2) | instid1(VALU_DEP_3)
	v_cndmask_b32_e32 v10, v12, v10, vcc_lo
	v_cmp_le_u32_e32 vcc_lo, s23, v13
	v_cndmask_b32_e64 v11, 0, -1, vcc_lo
	v_cmp_ne_u32_e32 vcc_lo, 0, v10
	s_delay_alu instid0(VALU_DEP_2) | instskip(SKIP_1) | instid1(VALU_DEP_2)
	v_dual_cndmask_b32 v10, v11, v14, s2 :: v_dual_cndmask_b32 v2, v2, v8, vcc_lo
	v_cndmask_b32_e32 v3, v3, v9, vcc_lo
	v_cmp_ne_u32_e32 vcc_lo, 0, v10
	s_delay_alu instid0(VALU_DEP_2) | instskip(SKIP_1) | instid1(VALU_DEP_2)
	v_dual_cndmask_b32 v3, v1, v3 :: v_dual_cndmask_b32 v2, v0, v2
	v_dual_mov_b32 v1, s20 :: v_dual_mov_b32 v0, s20
	v_xor_b32_e32 v3, s20, v3
	s_delay_alu instid0(VALU_DEP_3) | instskip(NEXT) | instid1(VALU_DEP_1)
	v_xor_b32_e32 v2, s20, v2
	v_sub_nc_u64_e32 v[8:9], v[2:3], v[0:1]
	s_cbranch_execnz .LBB1_4
.LBB1_3:
	v_cvt_f32_u32_e32 v0, s8
	s_sub_co_i32 s2, 0, s8
	v_mov_b32_e32 v9, 0
	s_delay_alu instid0(VALU_DEP_2) | instskip(SKIP_1) | instid1(TRANS32_DEP_1)
	v_rcp_iflag_f32_e32 v0, v0
	v_nop
	v_mul_f32_e32 v0, 0x4f7ffffe, v0
	s_delay_alu instid0(VALU_DEP_1) | instskip(NEXT) | instid1(VALU_DEP_1)
	v_cvt_u32_f32_e32 v0, v0
	v_mul_lo_u32 v1, s2, v0
	s_delay_alu instid0(VALU_DEP_1) | instskip(NEXT) | instid1(VALU_DEP_1)
	v_mul_hi_u32 v1, v0, v1
	v_add_nc_u32_e32 v0, v0, v1
	s_delay_alu instid0(VALU_DEP_1) | instskip(NEXT) | instid1(VALU_DEP_1)
	v_mul_hi_u32 v0, v6, v0
	v_mul_lo_u32 v1, v0, s8
	s_delay_alu instid0(VALU_DEP_1) | instskip(NEXT) | instid1(VALU_DEP_1)
	v_dual_add_nc_u32 v2, 1, v0 :: v_dual_sub_nc_u32 v1, v6, v1
	v_subrev_nc_u32_e32 v3, s8, v1
	v_cmp_le_u32_e32 vcc_lo, s8, v1
	s_delay_alu instid0(VALU_DEP_2) | instskip(NEXT) | instid1(VALU_DEP_1)
	v_dual_cndmask_b32 v1, v1, v3 :: v_dual_cndmask_b32 v0, v0, v2
	v_cmp_le_u32_e32 vcc_lo, s8, v1
	s_delay_alu instid0(VALU_DEP_2) | instskip(NEXT) | instid1(VALU_DEP_1)
	v_add_nc_u32_e32 v2, 1, v0
	v_cndmask_b32_e32 v8, v0, v2, vcc_lo
.LBB1_4:
	s_delay_alu instid0(VALU_DEP_1) | instskip(SKIP_1) | instid1(VALU_DEP_1)
	v_dual_mov_b32 v2, 0 :: v_dual_bitop2_b32 v3, s11, v9 bitop3:0x54
                                        ; implicit-def: $vgpr0_vgpr1
	s_mov_b32 s2, exec_lo
	v_cmpx_ne_u64_e32 0, v[2:3]
	s_xor_b32 s3, exec_lo, s2
	s_cbranch_execz .LBB1_6
; %bb.5:
	s_ashr_i32 s20, s11, 31
	s_mov_b32 s29, 0
	s_mov_b32 s21, s20
	v_dual_mov_b32 v13, v2 :: v_dual_ashrrev_i32 v0, 31, v9
	s_add_nc_u64 s[22:23], s[10:11], s[20:21]
	v_dual_mov_b32 v21, v2 :: v_dual_mov_b32 v3, v2
	s_xor_b64 s[20:21], s[22:23], s[20:21]
	s_delay_alu instid0(VALU_DEP_2) | instskip(SKIP_3) | instid1(VALU_DEP_1)
	v_mov_b32_e32 v1, v0
	s_cvt_f32_u32 s2, s20
	s_cvt_f32_u32 s22, s21
	s_sub_nc_u64 s[24:25], 0, s[20:21]
	v_add_nc_u64_e32 v[10:11], v[8:9], v[0:1]
	s_delay_alu instid0(SALU_CYCLE_1) | instskip(SKIP_1) | instid1(SALU_CYCLE_2)
	s_fmamk_f32 s2, s22, 0x4f800000, s2
	v_mov_b32_e32 v15, v2
	v_s_rcp_f32 s2, s2
	s_delay_alu instid0(VALU_DEP_2) | instskip(NEXT) | instid1(VALU_DEP_3)
	v_xor_b32_e32 v12, v10, v0
	v_xor_b32_e32 v14, v11, v0
	s_delay_alu instid0(TRANS32_DEP_1) | instskip(NEXT) | instid1(SALU_CYCLE_3)
	s_mul_f32 s2, s2, 0x5f7ffffc
	s_mul_f32 s22, s2, 0x2f800000
	s_delay_alu instid0(SALU_CYCLE_3) | instskip(NEXT) | instid1(SALU_CYCLE_3)
	s_trunc_f32 s22, s22
	s_fmamk_f32 s2, s22, 0xcf800000, s2
	s_cvt_u32_f32 s23, s22
	s_delay_alu instid0(SALU_CYCLE_2) | instskip(NEXT) | instid1(SALU_CYCLE_3)
	s_cvt_u32_f32 s22, s2
	s_mul_u64 s[26:27], s[24:25], s[22:23]
	s_delay_alu instid0(SALU_CYCLE_1)
	s_mul_hi_u32 s31, s22, s27
	s_mul_i32 s30, s22, s27
	s_mul_hi_u32 s28, s22, s26
	s_mul_i32 s33, s23, s26
	s_add_nc_u64 s[30:31], s[28:29], s[30:31]
	s_mul_hi_u32 s2, s23, s26
	s_mul_hi_u32 s36, s23, s27
	s_mul_i32 s26, s23, s27
	s_add_co_u32 s27, s30, s33
	s_add_co_ci_u32 s28, s31, s2
	s_add_co_ci_u32 s27, s36, 0
	s_delay_alu instid0(SALU_CYCLE_1) | instskip(NEXT) | instid1(SALU_CYCLE_1)
	s_add_nc_u64 s[26:27], s[28:29], s[26:27]
	s_add_co_u32 s22, s22, s26
	s_cselect_b32 s2, -1, 0
	s_delay_alu instid0(SALU_CYCLE_1) | instskip(SKIP_1) | instid1(SALU_CYCLE_1)
	s_cmp_lg_u32 s2, 0
	s_add_co_ci_u32 s23, s23, s27
	s_mul_u64 s[24:25], s[24:25], s[22:23]
	s_delay_alu instid0(SALU_CYCLE_1)
	s_mul_hi_u32 s27, s22, s25
	s_mul_i32 s26, s22, s25
	s_mul_hi_u32 s28, s22, s24
	s_mul_i32 s30, s23, s24
	s_add_nc_u64 s[26:27], s[28:29], s[26:27]
	s_mul_hi_u32 s2, s23, s24
	s_mul_hi_u32 s31, s23, s25
	s_mul_i32 s24, s23, s25
	s_add_co_u32 s25, s26, s30
	s_add_co_ci_u32 s28, s27, s2
	s_add_co_ci_u32 s25, s31, 0
	s_delay_alu instid0(SALU_CYCLE_1) | instskip(NEXT) | instid1(SALU_CYCLE_1)
	s_add_nc_u64 s[24:25], s[28:29], s[24:25]
	s_add_co_u32 s2, s22, s24
	s_cselect_b32 s22, -1, 0
	v_mul_hi_u32 v20, v12, s2
	s_cmp_lg_u32 s22, 0
	s_add_co_ci_u32 s28, s23, s25
	s_mov_b64 s[22:23], 0xffffffff
	v_mul_u64_e32 v[16:17], s[28:29], v[12:13]
	s_and_b64 s[22:23], s[2:3], s[22:23]
	v_mul_u64_e32 v[18:19], s[28:29], v[14:15]
	v_mul_u64_e32 v[10:11], s[22:23], v[14:15]
	s_delay_alu instid0(VALU_DEP_3) | instskip(NEXT) | instid1(VALU_DEP_1)
	v_add_nc_u64_e32 v[16:17], v[20:21], v[16:17]
	v_add_co_u32 v2, vcc_lo, v16, v10
	s_delay_alu instid0(VALU_DEP_2) | instskip(SKIP_1) | instid1(VALU_DEP_1)
	v_add_co_ci_u32_e32 v2, vcc_lo, v17, v11, vcc_lo
	v_add_co_ci_u32_e32 v19, vcc_lo, 0, v19, vcc_lo
	v_add_nc_u64_e32 v[2:3], v[2:3], v[18:19]
	s_delay_alu instid0(VALU_DEP_1) | instskip(NEXT) | instid1(VALU_DEP_1)
	v_mul_u64_e32 v[2:3], s[20:21], v[2:3]
	v_sub_nc_u32_e32 v10, v14, v3
	s_delay_alu instid0(VALU_DEP_2) | instskip(NEXT) | instid1(VALU_DEP_1)
	v_sub_co_u32 v2, vcc_lo, v12, v2
	v_sub_co_ci_u32_e64 v3, null, v14, v3, vcc_lo
	s_delay_alu instid0(VALU_DEP_3) | instskip(NEXT) | instid1(VALU_DEP_3)
	v_subrev_co_ci_u32_e64 v10, null, s21, v10, vcc_lo
	v_sub_co_u32 v11, vcc_lo, v2, s20
	v_cmp_le_u32_e64 s2, s20, v2
	s_delay_alu instid0(VALU_DEP_3) | instskip(SKIP_1) | instid1(VALU_DEP_3)
	v_subrev_co_ci_u32_e64 v12, null, 0, v10, vcc_lo
	v_subrev_co_ci_u32_e64 v10, null, s21, v10, vcc_lo
	v_cndmask_b32_e64 v13, 0, -1, s2
	v_cmp_le_u32_e64 s2, s20, v11
	v_cmp_le_u32_e32 vcc_lo, s21, v3
	s_delay_alu instid0(VALU_DEP_2) | instskip(SKIP_3) | instid1(VALU_DEP_3)
	v_cndmask_b32_e64 v14, 0, -1, s2
	v_cmp_le_u32_e64 s2, s21, v12
	v_cndmask_b32_e64 v16, 0, -1, vcc_lo
	v_cmp_eq_u32_e32 vcc_lo, s21, v12
	v_cndmask_b32_e64 v15, 0, -1, s2
	v_cmp_eq_u32_e64 s2, s21, v3
	s_delay_alu instid0(VALU_DEP_2) | instskip(SKIP_1) | instid1(VALU_DEP_1)
	v_cndmask_b32_e32 v14, v15, v14, vcc_lo
	v_sub_co_u32 v15, vcc_lo, v11, s20
	v_subrev_co_ci_u32_e64 v10, null, 0, v10, vcc_lo
	s_delay_alu instid0(VALU_DEP_3) | instskip(NEXT) | instid1(VALU_DEP_3)
	v_cmp_ne_u32_e32 vcc_lo, 0, v14
	v_dual_cndmask_b32 v13, v16, v13, s2 :: v_dual_cndmask_b32 v11, v11, v15, vcc_lo
	s_delay_alu instid0(VALU_DEP_3) | instskip(NEXT) | instid1(VALU_DEP_2)
	v_cndmask_b32_e32 v10, v12, v10, vcc_lo
	v_cmp_ne_u32_e32 vcc_lo, 0, v13
	s_delay_alu instid0(VALU_DEP_2) | instskip(NEXT) | instid1(VALU_DEP_1)
	v_dual_cndmask_b32 v2, v2, v11 :: v_dual_cndmask_b32 v3, v3, v10
	v_xor_b32_e32 v2, v2, v0
	s_delay_alu instid0(VALU_DEP_2) | instskip(NEXT) | instid1(VALU_DEP_1)
	v_xor_b32_e32 v3, v3, v0
	v_sub_nc_u64_e32 v[0:1], v[2:3], v[0:1]
.LBB1_6:
	s_or_saveexec_b32 s2, s3
	s_clause 0x1
	s_load_b128 s[28:31], s[34:35], 0x60
	s_load_b256 s[20:27], s[34:35], 0x40
	s_xor_b32 exec_lo, exec_lo, s2
	s_cbranch_execz .LBB1_8
; %bb.7:
	v_cvt_f32_u32_e32 v0, s10
	s_sub_co_i32 s3, 0, s10
	s_delay_alu instid0(VALU_DEP_1) | instskip(SKIP_1) | instid1(TRANS32_DEP_1)
	v_rcp_iflag_f32_e32 v0, v0
	v_nop
	v_mul_f32_e32 v0, 0x4f7ffffe, v0
	s_delay_alu instid0(VALU_DEP_1) | instskip(NEXT) | instid1(VALU_DEP_1)
	v_cvt_u32_f32_e32 v0, v0
	v_mul_lo_u32 v1, s3, v0
	s_delay_alu instid0(VALU_DEP_1) | instskip(NEXT) | instid1(VALU_DEP_1)
	v_mul_hi_u32 v1, v0, v1
	v_add_nc_u32_e32 v0, v0, v1
	s_delay_alu instid0(VALU_DEP_1) | instskip(NEXT) | instid1(VALU_DEP_1)
	v_mul_hi_u32 v0, v8, v0
	v_mul_lo_u32 v0, v0, s10
	s_delay_alu instid0(VALU_DEP_1) | instskip(NEXT) | instid1(VALU_DEP_1)
	v_sub_nc_u32_e32 v0, v8, v0
	v_subrev_nc_u32_e32 v1, s10, v0
	v_cmp_le_u32_e32 vcc_lo, s10, v0
	s_delay_alu instid0(VALU_DEP_2) | instskip(NEXT) | instid1(VALU_DEP_1)
	v_cndmask_b32_e32 v0, v0, v1, vcc_lo
	v_subrev_nc_u32_e32 v1, s10, v0
	v_cmp_le_u32_e32 vcc_lo, s10, v0
	s_delay_alu instid0(VALU_DEP_2)
	v_dual_cndmask_b32 v0, v0, v1 :: v_dual_mov_b32 v1, 0
.LBB1_8:
	s_or_b32 exec_lo, exec_lo, s2
	s_wait_xcnt 0x0
	s_mul_u64 s[34:35], s[10:11], s[8:9]
	s_delay_alu instid0(SALU_CYCLE_1) | instskip(NEXT) | instid1(SALU_CYCLE_1)
	s_and_b64 s[2:3], s[34:35], 0xffffffff00000000
	s_cmp_lg_u64 s[2:3], 0
	s_cbranch_scc0 .LBB1_46
; %bb.9:
	s_ashr_i32 s36, s35, 31
	v_dual_mov_b32 v3, 0 :: v_dual_mov_b32 v2, v4
	s_mov_b32 s37, s36
	s_delay_alu instid0(SALU_CYCLE_1) | instskip(NEXT) | instid1(SALU_CYCLE_1)
	s_add_nc_u64 s[2:3], s[34:35], s[36:37]
	s_xor_b64 s[38:39], s[2:3], s[36:37]
	s_delay_alu instid0(SALU_CYCLE_1) | instskip(SKIP_2) | instid1(SALU_CYCLE_2)
	s_cvt_f32_u32 s2, s38
	s_cvt_f32_u32 s3, s39
	s_sub_nc_u64 s[42:43], 0, s[38:39]
	s_fmamk_f32 s2, s3, 0x4f800000, s2
	s_delay_alu instid0(SALU_CYCLE_3) | instskip(NEXT) | instid1(TRANS32_DEP_1)
	v_s_rcp_f32 s2, s2
	s_mul_f32 s2, s2, 0x5f7ffffc
	s_delay_alu instid0(SALU_CYCLE_3) | instskip(NEXT) | instid1(SALU_CYCLE_3)
	s_mul_f32 s3, s2, 0x2f800000
	s_trunc_f32 s3, s3
	s_delay_alu instid0(SALU_CYCLE_3) | instskip(SKIP_2) | instid1(SALU_CYCLE_1)
	s_fmamk_f32 s2, s3, 0xcf800000, s2
	s_cvt_u32_f32 s41, s3
	s_mov_b32 s3, 0
	s_cvt_u32_f32 s40, s2
	s_delay_alu instid0(SALU_CYCLE_3) | instskip(NEXT) | instid1(SALU_CYCLE_1)
	s_mul_u64 s[44:45], s[42:43], s[40:41]
	s_mul_hi_u32 s47, s40, s45
	s_mul_i32 s46, s40, s45
	s_mul_hi_u32 s2, s40, s44
	s_mul_i32 s37, s41, s44
	s_add_nc_u64 s[46:47], s[2:3], s[46:47]
	s_mul_hi_u32 s33, s41, s44
	s_mul_hi_u32 s48, s41, s45
	s_add_co_u32 s2, s46, s37
	s_add_co_ci_u32 s2, s47, s33
	s_mul_i32 s44, s41, s45
	s_add_co_ci_u32 s45, s48, 0
	s_delay_alu instid0(SALU_CYCLE_1) | instskip(NEXT) | instid1(SALU_CYCLE_1)
	s_add_nc_u64 s[44:45], s[2:3], s[44:45]
	s_add_co_u32 s40, s40, s44
	s_cselect_b32 s2, -1, 0
	s_delay_alu instid0(SALU_CYCLE_1) | instskip(SKIP_1) | instid1(SALU_CYCLE_1)
	s_cmp_lg_u32 s2, 0
	s_add_co_ci_u32 s41, s41, s45
	s_mul_u64 s[42:43], s[42:43], s[40:41]
	s_delay_alu instid0(SALU_CYCLE_1)
	s_mul_hi_u32 s45, s40, s43
	s_mul_i32 s44, s40, s43
	s_mul_hi_u32 s2, s40, s42
	s_mul_i32 s37, s41, s42
	s_add_nc_u64 s[44:45], s[2:3], s[44:45]
	s_mul_hi_u32 s33, s41, s42
	s_mul_hi_u32 s46, s41, s43
	s_add_co_u32 s2, s44, s37
	s_add_co_ci_u32 s2, s45, s33
	s_mul_i32 s42, s41, s43
	s_add_co_ci_u32 s43, s46, 0
	s_delay_alu instid0(SALU_CYCLE_1) | instskip(NEXT) | instid1(SALU_CYCLE_1)
	s_add_nc_u64 s[42:43], s[2:3], s[42:43]
	s_add_co_u32 s40, s40, s42
	s_cselect_b32 s2, -1, 0
	s_delay_alu instid0(SALU_CYCLE_1)
	s_cmp_lg_u32 s2, 0
	s_add_co_ci_u32 s2, s41, s43
	s_mov_b64 s[42:43], 0xffffffff
	v_nop
	v_mul_u64_e32 v[10:11], s[2:3], v[2:3]
	v_mul_hi_u32 v2, v4, s40
	s_and_b64 s[40:41], s[40:41], s[42:43]
	s_delay_alu instid0(VALU_DEP_1) | instskip(SKIP_1) | instid1(VALU_DEP_1)
	v_add_nc_u64_e32 v[10:11], v[2:3], v[10:11]
	v_mov_b32_e32 v2, v5
	v_mul_u64_e32 v[12:13], s[40:41], v[2:3]
	v_mul_u64_e32 v[14:15], s[2:3], v[2:3]
	s_delay_alu instid0(VALU_DEP_2) | instskip(NEXT) | instid1(VALU_DEP_3)
	v_add_co_u32 v2, vcc_lo, v10, v12
	v_add_co_ci_u32_e32 v2, vcc_lo, v11, v13, vcc_lo
	s_delay_alu instid0(VALU_DEP_3) | instskip(NEXT) | instid1(VALU_DEP_1)
	v_add_co_ci_u32_e32 v15, vcc_lo, 0, v15, vcc_lo
	v_add_nc_u64_e32 v[2:3], v[2:3], v[14:15]
	s_delay_alu instid0(VALU_DEP_1) | instskip(NEXT) | instid1(VALU_DEP_1)
	v_mul_u64_e32 v[10:11], s[38:39], v[2:3]
	v_sub_nc_u32_e32 v12, v5, v11
	s_delay_alu instid0(VALU_DEP_2) | instskip(NEXT) | instid1(VALU_DEP_1)
	v_sub_co_u32 v10, vcc_lo, v4, v10
	v_sub_co_ci_u32_e64 v17, null, v5, v11, vcc_lo
	s_delay_alu instid0(VALU_DEP_3) | instskip(NEXT) | instid1(VALU_DEP_3)
	v_subrev_co_ci_u32_e64 v12, null, s39, v12, vcc_lo
	v_sub_co_u32 v14, s2, v10, s38
	v_cmp_le_u32_e32 vcc_lo, s38, v10
	s_delay_alu instid0(VALU_DEP_3) | instskip(NEXT) | instid1(VALU_DEP_3)
	v_subrev_co_ci_u32_e64 v15, null, 0, v12, s2
	v_cmp_le_u32_e64 s2, s38, v14
	v_add_nc_u64_e32 v[12:13], 2, v[2:3]
	v_cndmask_b32_e64 v18, 0, -1, vcc_lo
	s_delay_alu instid0(VALU_DEP_4) | instskip(SKIP_3) | instid1(VALU_DEP_1)
	v_cmp_eq_u32_e32 vcc_lo, s39, v15
	v_add_nc_u64_e32 v[10:11], 1, v[2:3]
	v_cndmask_b32_e64 v14, 0, -1, s2
	v_cmp_le_u32_e64 s2, s39, v15
	v_cndmask_b32_e64 v16, 0, -1, s2
	v_cmp_eq_u32_e64 s2, s39, v17
	s_delay_alu instid0(VALU_DEP_2) | instskip(SKIP_2) | instid1(VALU_DEP_3)
	v_cndmask_b32_e32 v14, v16, v14, vcc_lo
	v_cmp_le_u32_e32 vcc_lo, s39, v17
	v_cndmask_b32_e64 v15, 0, -1, vcc_lo
	v_cmp_ne_u32_e32 vcc_lo, 0, v14
	s_delay_alu instid0(VALU_DEP_2) | instskip(SKIP_1) | instid1(VALU_DEP_2)
	v_dual_cndmask_b32 v14, v15, v18, s2 :: v_dual_cndmask_b32 v10, v10, v12, vcc_lo
	v_cndmask_b32_e32 v11, v11, v13, vcc_lo
	v_cmp_ne_u32_e32 vcc_lo, 0, v14
	s_delay_alu instid0(VALU_DEP_2) | instskip(SKIP_1) | instid1(VALU_DEP_2)
	v_dual_cndmask_b32 v11, v3, v11 :: v_dual_cndmask_b32 v10, v2, v10
	v_dual_mov_b32 v3, s36 :: v_dual_mov_b32 v2, s36
	v_xor_b32_e32 v11, s36, v11
	s_delay_alu instid0(VALU_DEP_3) | instskip(NEXT) | instid1(VALU_DEP_1)
	v_xor_b32_e32 v10, s36, v10
	v_sub_nc_u64_e32 v[10:11], v[10:11], v[2:3]
	s_cbranch_execnz .LBB1_11
.LBB1_10:
	v_cvt_f32_u32_e32 v2, s34
	s_sub_co_i32 s2, 0, s34
	s_delay_alu instid0(VALU_DEP_1) | instskip(SKIP_1) | instid1(TRANS32_DEP_1)
	v_rcp_iflag_f32_e32 v2, v2
	v_nop
	v_mul_f32_e32 v2, 0x4f7ffffe, v2
	s_delay_alu instid0(VALU_DEP_1) | instskip(NEXT) | instid1(VALU_DEP_1)
	v_cvt_u32_f32_e32 v2, v2
	v_mul_lo_u32 v3, s2, v2
	s_delay_alu instid0(VALU_DEP_1) | instskip(NEXT) | instid1(VALU_DEP_1)
	v_mul_hi_u32 v3, v2, v3
	v_add_nc_u32_e32 v2, v2, v3
	s_delay_alu instid0(VALU_DEP_1) | instskip(NEXT) | instid1(VALU_DEP_1)
	v_mul_hi_u32 v2, v6, v2
	v_mul_lo_u32 v3, v2, s34
	s_delay_alu instid0(VALU_DEP_1) | instskip(NEXT) | instid1(VALU_DEP_1)
	v_sub_nc_u32_e32 v3, v6, v3
	v_subrev_nc_u32_e32 v11, s34, v3
	v_cmp_le_u32_e32 vcc_lo, s34, v3
	s_delay_alu instid0(VALU_DEP_2) | instskip(NEXT) | instid1(VALU_DEP_1)
	v_dual_cndmask_b32 v3, v3, v11 :: v_dual_add_nc_u32 v10, 1, v2
	v_dual_cndmask_b32 v2, v2, v10 :: v_dual_mov_b32 v11, 0
	s_delay_alu instid0(VALU_DEP_2) | instskip(NEXT) | instid1(VALU_DEP_2)
	v_cmp_le_u32_e32 vcc_lo, s34, v3
	v_add_nc_u32_e32 v10, 1, v2
	s_delay_alu instid0(VALU_DEP_1)
	v_cndmask_b32_e32 v10, v2, v10, vcc_lo
.LBB1_11:
	s_wait_kmcnt 0x0
	s_delay_alu instid0(VALU_DEP_1) | instskip(SKIP_1) | instid1(VALU_DEP_1)
	v_dual_mov_b32 v12, 0 :: v_dual_bitop2_b32 v13, s31, v11 bitop3:0x54
                                        ; implicit-def: $vgpr2_vgpr3
	s_mov_b32 s2, exec_lo
	v_cmpx_ne_u64_e32 0, v[12:13]
	s_xor_b32 s3, exec_lo, s2
	s_cbranch_execz .LBB1_13
; %bb.12:
	s_ashr_i32 s36, s31, 31
	s_mov_b32 s45, 0
	s_mov_b32 s37, s36
	v_dual_mov_b32 v15, v12 :: v_dual_ashrrev_i32 v2, 31, v11
	s_add_nc_u64 s[38:39], s[30:31], s[36:37]
	v_mov_b32_e32 v17, v12
	s_xor_b64 s[36:37], s[38:39], s[36:37]
	s_delay_alu instid0(VALU_DEP_2)
	v_mov_b32_e32 v3, v2
	s_cvt_f32_u32 s2, s36
	s_cvt_f32_u32 s33, s37
	s_sub_nc_u64 s[40:41], 0, s[36:37]
	v_mov_b32_e32 v23, v12
	v_add_nc_u64_e32 v[10:11], v[10:11], v[2:3]
	s_fmamk_f32 s2, s33, 0x4f800000, s2
	v_mov_b32_e32 v13, v12
	s_delay_alu instid0(SALU_CYCLE_2) | instskip(NEXT) | instid1(VALU_DEP_2)
	v_s_rcp_f32 s2, s2
	v_xor_b32_e32 v14, v10, v2
	s_delay_alu instid0(VALU_DEP_3) | instskip(NEXT) | instid1(TRANS32_DEP_1)
	v_xor_b32_e32 v16, v11, v2
	s_mul_f32 s2, s2, 0x5f7ffffc
	s_delay_alu instid0(SALU_CYCLE_3) | instskip(NEXT) | instid1(SALU_CYCLE_3)
	s_mul_f32 s33, s2, 0x2f800000
	s_trunc_f32 s33, s33
	s_delay_alu instid0(SALU_CYCLE_3) | instskip(SKIP_1) | instid1(SALU_CYCLE_2)
	s_fmamk_f32 s2, s33, 0xcf800000, s2
	s_cvt_u32_f32 s39, s33
	s_cvt_u32_f32 s38, s2
	s_delay_alu instid0(SALU_CYCLE_3) | instskip(NEXT) | instid1(SALU_CYCLE_1)
	s_mul_u64 s[42:43], s[40:41], s[38:39]
	s_mul_hi_u32 s47, s38, s43
	s_mul_i32 s46, s38, s43
	s_mul_hi_u32 s44, s38, s42
	s_mul_i32 s33, s39, s42
	s_add_nc_u64 s[46:47], s[44:45], s[46:47]
	s_mul_hi_u32 s2, s39, s42
	s_mul_hi_u32 s48, s39, s43
	s_add_co_u32 s33, s46, s33
	s_add_co_ci_u32 s44, s47, s2
	s_mul_i32 s42, s39, s43
	s_add_co_ci_u32 s43, s48, 0
	s_delay_alu instid0(SALU_CYCLE_1) | instskip(NEXT) | instid1(SALU_CYCLE_1)
	s_add_nc_u64 s[42:43], s[44:45], s[42:43]
	s_add_co_u32 s38, s38, s42
	s_cselect_b32 s2, -1, 0
	s_delay_alu instid0(SALU_CYCLE_1) | instskip(SKIP_1) | instid1(SALU_CYCLE_1)
	s_cmp_lg_u32 s2, 0
	s_add_co_ci_u32 s39, s39, s43
	s_mul_u64 s[40:41], s[40:41], s[38:39]
	s_delay_alu instid0(SALU_CYCLE_1)
	s_mul_hi_u32 s43, s38, s41
	s_mul_i32 s42, s38, s41
	s_mul_hi_u32 s44, s38, s40
	s_mul_i32 s33, s39, s40
	s_add_nc_u64 s[42:43], s[44:45], s[42:43]
	s_mul_hi_u32 s2, s39, s40
	s_mul_hi_u32 s46, s39, s41
	s_add_co_u32 s33, s42, s33
	s_add_co_ci_u32 s44, s43, s2
	s_mul_i32 s40, s39, s41
	s_add_co_ci_u32 s41, s46, 0
	s_delay_alu instid0(SALU_CYCLE_1) | instskip(NEXT) | instid1(SALU_CYCLE_1)
	s_add_nc_u64 s[40:41], s[44:45], s[40:41]
	s_add_co_u32 s2, s38, s40
	s_cselect_b32 s33, -1, 0
	v_mul_hi_u32 v22, v14, s2
	s_cmp_lg_u32 s33, 0
	s_add_co_ci_u32 s44, s39, s41
	s_mov_b64 s[38:39], 0xffffffff
	v_mul_u64_e32 v[18:19], s[44:45], v[14:15]
	s_and_b64 s[38:39], s[2:3], s[38:39]
	v_mul_u64_e32 v[20:21], s[44:45], v[16:17]
	v_mul_u64_e32 v[10:11], s[38:39], v[16:17]
	s_delay_alu instid0(VALU_DEP_3) | instskip(NEXT) | instid1(VALU_DEP_1)
	v_add_nc_u64_e32 v[18:19], v[22:23], v[18:19]
	v_add_co_u32 v10, vcc_lo, v18, v10
	s_delay_alu instid0(VALU_DEP_2) | instskip(SKIP_1) | instid1(VALU_DEP_1)
	v_add_co_ci_u32_e32 v12, vcc_lo, v19, v11, vcc_lo
	v_add_co_ci_u32_e32 v21, vcc_lo, 0, v21, vcc_lo
	v_add_nc_u64_e32 v[10:11], v[12:13], v[20:21]
	s_delay_alu instid0(VALU_DEP_1) | instskip(NEXT) | instid1(VALU_DEP_1)
	v_mul_u64_e32 v[10:11], s[36:37], v[10:11]
	v_sub_nc_u32_e32 v12, v16, v11
	s_delay_alu instid0(VALU_DEP_2) | instskip(NEXT) | instid1(VALU_DEP_1)
	v_sub_co_u32 v10, vcc_lo, v14, v10
	v_sub_co_ci_u32_e64 v11, null, v16, v11, vcc_lo
	s_delay_alu instid0(VALU_DEP_3) | instskip(NEXT) | instid1(VALU_DEP_3)
	v_subrev_co_ci_u32_e64 v12, null, s37, v12, vcc_lo
	v_sub_co_u32 v13, vcc_lo, v10, s36
	v_cmp_le_u32_e64 s2, s36, v10
	s_delay_alu instid0(VALU_DEP_3) | instskip(SKIP_1) | instid1(VALU_DEP_3)
	v_subrev_co_ci_u32_e64 v14, null, 0, v12, vcc_lo
	v_subrev_co_ci_u32_e64 v12, null, s37, v12, vcc_lo
	v_cndmask_b32_e64 v15, 0, -1, s2
	v_cmp_le_u32_e64 s2, s36, v13
	v_cmp_le_u32_e32 vcc_lo, s37, v11
	s_delay_alu instid0(VALU_DEP_2) | instskip(SKIP_3) | instid1(VALU_DEP_3)
	v_cndmask_b32_e64 v16, 0, -1, s2
	v_cmp_le_u32_e64 s2, s37, v14
	v_cndmask_b32_e64 v18, 0, -1, vcc_lo
	v_cmp_eq_u32_e32 vcc_lo, s37, v14
	v_cndmask_b32_e64 v17, 0, -1, s2
	v_cmp_eq_u32_e64 s2, s37, v11
	s_delay_alu instid0(VALU_DEP_2) | instskip(SKIP_1) | instid1(VALU_DEP_1)
	v_cndmask_b32_e32 v16, v17, v16, vcc_lo
	v_sub_co_u32 v17, vcc_lo, v13, s36
	v_subrev_co_ci_u32_e64 v12, null, 0, v12, vcc_lo
	s_delay_alu instid0(VALU_DEP_3) | instskip(NEXT) | instid1(VALU_DEP_3)
	v_cmp_ne_u32_e32 vcc_lo, 0, v16
	v_dual_cndmask_b32 v15, v18, v15, s2 :: v_dual_cndmask_b32 v13, v13, v17, vcc_lo
	s_delay_alu instid0(VALU_DEP_3) | instskip(NEXT) | instid1(VALU_DEP_2)
	v_cndmask_b32_e32 v12, v14, v12, vcc_lo
	v_cmp_ne_u32_e32 vcc_lo, 0, v15
	s_delay_alu instid0(VALU_DEP_2) | instskip(NEXT) | instid1(VALU_DEP_1)
	v_dual_cndmask_b32 v11, v11, v12 :: v_dual_cndmask_b32 v10, v10, v13
	v_xor_b32_e32 v11, v11, v2
	s_delay_alu instid0(VALU_DEP_2) | instskip(NEXT) | instid1(VALU_DEP_1)
	v_xor_b32_e32 v10, v10, v2
	v_sub_nc_u64_e32 v[2:3], v[10:11], v[2:3]
                                        ; implicit-def: $vgpr10_vgpr11
.LBB1_13:
	s_and_not1_saveexec_b32 s2, s3
	s_cbranch_execz .LBB1_15
; %bb.14:
	v_cvt_f32_u32_e32 v2, s30
	s_sub_co_i32 s3, 0, s30
	s_delay_alu instid0(VALU_DEP_1) | instskip(SKIP_1) | instid1(TRANS32_DEP_1)
	v_rcp_iflag_f32_e32 v2, v2
	v_nop
	v_mul_f32_e32 v2, 0x4f7ffffe, v2
	s_delay_alu instid0(VALU_DEP_1) | instskip(NEXT) | instid1(VALU_DEP_1)
	v_cvt_u32_f32_e32 v2, v2
	v_mul_lo_u32 v3, s3, v2
	s_delay_alu instid0(VALU_DEP_1) | instskip(NEXT) | instid1(VALU_DEP_1)
	v_mul_hi_u32 v3, v2, v3
	v_add_nc_u32_e32 v2, v2, v3
	s_delay_alu instid0(VALU_DEP_1) | instskip(NEXT) | instid1(VALU_DEP_1)
	v_mul_hi_u32 v2, v10, v2
	v_mul_lo_u32 v2, v2, s30
	s_delay_alu instid0(VALU_DEP_1) | instskip(NEXT) | instid1(VALU_DEP_1)
	v_sub_nc_u32_e32 v2, v10, v2
	v_subrev_nc_u32_e32 v3, s30, v2
	v_cmp_le_u32_e32 vcc_lo, s30, v2
	s_delay_alu instid0(VALU_DEP_2) | instskip(NEXT) | instid1(VALU_DEP_1)
	v_cndmask_b32_e32 v2, v2, v3, vcc_lo
	v_subrev_nc_u32_e32 v3, s30, v2
	v_cmp_le_u32_e32 vcc_lo, s30, v2
	s_delay_alu instid0(VALU_DEP_2)
	v_dual_cndmask_b32 v2, v2, v3 :: v_dual_mov_b32 v3, 0
.LBB1_15:
	s_or_b32 exec_lo, exec_lo, s2
	s_mul_u64 s[34:35], s[30:31], s[34:35]
	s_delay_alu instid0(SALU_CYCLE_1) | instskip(NEXT) | instid1(SALU_CYCLE_1)
	s_and_b64 s[2:3], s[34:35], 0xffffffff00000000
	s_cmp_lg_u64 s[2:3], 0
	s_cbranch_scc0 .LBB1_47
; %bb.16:
	s_ashr_i32 s36, s35, 31
	v_dual_mov_b32 v11, 0 :: v_dual_mov_b32 v10, v4
	s_mov_b32 s37, s36
	s_delay_alu instid0(SALU_CYCLE_1) | instskip(NEXT) | instid1(SALU_CYCLE_1)
	s_add_nc_u64 s[2:3], s[34:35], s[36:37]
	s_xor_b64 s[38:39], s[2:3], s[36:37]
	s_delay_alu instid0(SALU_CYCLE_1) | instskip(SKIP_2) | instid1(SALU_CYCLE_2)
	s_cvt_f32_u32 s2, s38
	s_cvt_f32_u32 s3, s39
	s_sub_nc_u64 s[42:43], 0, s[38:39]
	s_fmamk_f32 s2, s3, 0x4f800000, s2
	s_delay_alu instid0(SALU_CYCLE_3) | instskip(NEXT) | instid1(TRANS32_DEP_1)
	v_s_rcp_f32 s2, s2
	s_mul_f32 s2, s2, 0x5f7ffffc
	s_delay_alu instid0(SALU_CYCLE_3) | instskip(NEXT) | instid1(SALU_CYCLE_3)
	s_mul_f32 s3, s2, 0x2f800000
	s_trunc_f32 s3, s3
	s_delay_alu instid0(SALU_CYCLE_3) | instskip(SKIP_2) | instid1(SALU_CYCLE_1)
	s_fmamk_f32 s2, s3, 0xcf800000, s2
	s_cvt_u32_f32 s41, s3
	s_mov_b32 s3, 0
	s_cvt_u32_f32 s40, s2
	s_delay_alu instid0(SALU_CYCLE_3) | instskip(NEXT) | instid1(SALU_CYCLE_1)
	s_mul_u64 s[44:45], s[42:43], s[40:41]
	s_mul_hi_u32 s47, s40, s45
	s_mul_i32 s46, s40, s45
	s_mul_hi_u32 s2, s40, s44
	s_mul_i32 s35, s41, s44
	s_add_nc_u64 s[46:47], s[2:3], s[46:47]
	s_mul_hi_u32 s33, s41, s44
	s_mul_hi_u32 s37, s41, s45
	s_add_co_u32 s2, s46, s35
	s_add_co_ci_u32 s2, s47, s33
	s_mul_i32 s44, s41, s45
	s_add_co_ci_u32 s45, s37, 0
	s_delay_alu instid0(SALU_CYCLE_1) | instskip(NEXT) | instid1(SALU_CYCLE_1)
	s_add_nc_u64 s[44:45], s[2:3], s[44:45]
	s_add_co_u32 s40, s40, s44
	s_cselect_b32 s2, -1, 0
	s_delay_alu instid0(SALU_CYCLE_1) | instskip(SKIP_1) | instid1(SALU_CYCLE_1)
	s_cmp_lg_u32 s2, 0
	s_add_co_ci_u32 s41, s41, s45
	s_mul_u64 s[42:43], s[42:43], s[40:41]
	s_delay_alu instid0(SALU_CYCLE_1)
	s_mul_hi_u32 s45, s40, s43
	s_mul_i32 s44, s40, s43
	s_mul_hi_u32 s2, s40, s42
	s_mul_i32 s35, s41, s42
	s_add_nc_u64 s[44:45], s[2:3], s[44:45]
	s_mul_hi_u32 s33, s41, s42
	s_mul_hi_u32 s37, s41, s43
	s_add_co_u32 s2, s44, s35
	s_add_co_ci_u32 s2, s45, s33
	s_mul_i32 s42, s41, s43
	s_add_co_ci_u32 s43, s37, 0
	s_delay_alu instid0(SALU_CYCLE_1) | instskip(NEXT) | instid1(SALU_CYCLE_1)
	s_add_nc_u64 s[42:43], s[2:3], s[42:43]
	s_add_co_u32 s40, s40, s42
	s_cselect_b32 s2, -1, 0
	s_delay_alu instid0(SALU_CYCLE_1)
	s_cmp_lg_u32 s2, 0
	s_add_co_ci_u32 s2, s41, s43
	s_mov_b64 s[42:43], 0xffffffff
	v_nop
	v_mul_u64_e32 v[12:13], s[2:3], v[10:11]
	v_mul_hi_u32 v10, v4, s40
	s_and_b64 s[40:41], s[40:41], s[42:43]
	s_delay_alu instid0(VALU_DEP_1) | instskip(SKIP_1) | instid1(VALU_DEP_1)
	v_add_nc_u64_e32 v[12:13], v[10:11], v[12:13]
	v_mov_b32_e32 v10, v5
	v_mul_u64_e32 v[14:15], s[40:41], v[10:11]
	v_mul_u64_e32 v[16:17], s[2:3], v[10:11]
	s_delay_alu instid0(VALU_DEP_2) | instskip(NEXT) | instid1(VALU_DEP_3)
	v_add_co_u32 v10, vcc_lo, v12, v14
	v_add_co_ci_u32_e32 v10, vcc_lo, v13, v15, vcc_lo
	s_delay_alu instid0(VALU_DEP_3) | instskip(NEXT) | instid1(VALU_DEP_1)
	v_add_co_ci_u32_e32 v17, vcc_lo, 0, v17, vcc_lo
	v_add_nc_u64_e32 v[10:11], v[10:11], v[16:17]
	s_delay_alu instid0(VALU_DEP_1) | instskip(NEXT) | instid1(VALU_DEP_1)
	v_mul_u64_e32 v[12:13], s[38:39], v[10:11]
	v_sub_nc_u32_e32 v14, v5, v13
	s_delay_alu instid0(VALU_DEP_2) | instskip(NEXT) | instid1(VALU_DEP_1)
	v_sub_co_u32 v4, vcc_lo, v4, v12
	v_sub_co_ci_u32_e64 v13, null, v5, v13, vcc_lo
	s_delay_alu instid0(VALU_DEP_3) | instskip(NEXT) | instid1(VALU_DEP_3)
	v_subrev_co_ci_u32_e64 v12, null, s39, v14, vcc_lo
	v_sub_co_u32 v16, s2, v4, s38
	v_cmp_le_u32_e32 vcc_lo, s38, v4
	s_delay_alu instid0(VALU_DEP_3) | instskip(NEXT) | instid1(VALU_DEP_3)
	v_subrev_co_ci_u32_e64 v12, null, 0, v12, s2
	v_cmp_le_u32_e64 s2, s38, v16
	v_add_nc_u64_e32 v[14:15], 2, v[10:11]
	v_cndmask_b32_e64 v18, 0, -1, vcc_lo
	s_delay_alu instid0(VALU_DEP_4) | instskip(SKIP_3) | instid1(VALU_DEP_1)
	v_cmp_eq_u32_e32 vcc_lo, s39, v12
	v_add_nc_u64_e32 v[4:5], 1, v[10:11]
	v_cndmask_b32_e64 v16, 0, -1, s2
	v_cmp_le_u32_e64 s2, s39, v12
	v_cndmask_b32_e64 v17, 0, -1, s2
	v_cmp_eq_u32_e64 s2, s39, v13
	s_delay_alu instid0(VALU_DEP_2) | instskip(SKIP_2) | instid1(VALU_DEP_3)
	v_cndmask_b32_e32 v12, v17, v16, vcc_lo
	v_cmp_le_u32_e32 vcc_lo, s39, v13
	v_cndmask_b32_e64 v16, 0, -1, vcc_lo
	v_cmp_ne_u32_e32 vcc_lo, 0, v12
	s_delay_alu instid0(VALU_DEP_2) | instskip(SKIP_1) | instid1(VALU_DEP_2)
	v_dual_cndmask_b32 v12, v16, v18, s2 :: v_dual_cndmask_b32 v5, v5, v15, vcc_lo
	v_cndmask_b32_e32 v4, v4, v14, vcc_lo
	v_cmp_ne_u32_e32 vcc_lo, 0, v12
	s_delay_alu instid0(VALU_DEP_2) | instskip(SKIP_1) | instid1(VALU_DEP_2)
	v_dual_cndmask_b32 v11, v11, v5 :: v_dual_cndmask_b32 v10, v10, v4
	v_dual_mov_b32 v5, s36 :: v_dual_mov_b32 v4, s36
	v_xor_b32_e32 v11, s36, v11
	s_delay_alu instid0(VALU_DEP_3) | instskip(NEXT) | instid1(VALU_DEP_1)
	v_xor_b32_e32 v10, s36, v10
	v_sub_nc_u64_e32 v[4:5], v[10:11], v[4:5]
	s_cbranch_execnz .LBB1_18
.LBB1_17:
	v_cvt_f32_u32_e32 v4, s34
	s_sub_co_i32 s2, 0, s34
	s_delay_alu instid0(VALU_DEP_1) | instskip(SKIP_1) | instid1(TRANS32_DEP_1)
	v_rcp_iflag_f32_e32 v4, v4
	v_nop
	v_mul_f32_e32 v4, 0x4f7ffffe, v4
	s_delay_alu instid0(VALU_DEP_1) | instskip(NEXT) | instid1(VALU_DEP_1)
	v_cvt_u32_f32_e32 v4, v4
	v_mul_lo_u32 v5, s2, v4
	s_delay_alu instid0(VALU_DEP_1) | instskip(NEXT) | instid1(VALU_DEP_1)
	v_mul_hi_u32 v5, v4, v5
	v_add_nc_u32_e32 v4, v4, v5
	s_delay_alu instid0(VALU_DEP_1) | instskip(NEXT) | instid1(VALU_DEP_1)
	v_mul_hi_u32 v4, v6, v4
	v_mul_lo_u32 v5, v4, s34
	s_delay_alu instid0(VALU_DEP_1) | instskip(NEXT) | instid1(VALU_DEP_1)
	v_dual_add_nc_u32 v10, 1, v4 :: v_dual_sub_nc_u32 v5, v6, v5
	v_subrev_nc_u32_e32 v11, s34, v5
	v_cmp_le_u32_e32 vcc_lo, s34, v5
	s_delay_alu instid0(VALU_DEP_2) | instskip(NEXT) | instid1(VALU_DEP_1)
	v_dual_cndmask_b32 v5, v5, v11 :: v_dual_cndmask_b32 v4, v4, v10
	v_cmp_le_u32_e32 vcc_lo, s34, v5
	s_delay_alu instid0(VALU_DEP_2) | instskip(NEXT) | instid1(VALU_DEP_1)
	v_dual_mov_b32 v5, 0 :: v_dual_add_nc_u32 v10, 1, v4
	v_cndmask_b32_e32 v4, v4, v10, vcc_lo
.LBB1_18:
	v_mul_u64_e32 v[8:9], s[8:9], v[8:9]
	v_cmp_lt_i64_e64 s2, s[28:29], 1
	s_and_b32 vcc_lo, exec_lo, s2
	v_sub_nc_u64_e32 v[6:7], v[6:7], v[8:9]
	s_cbranch_vccnz .LBB1_48
; %bb.19:
	v_mul_u64_e32 v[8:9], s[18:19], v[0:1]
	s_add_nc_u64 s[2:3], s[22:23], s[26:27]
	v_mov_b32_e32 v14, 0
	s_delay_alu instid0(VALU_DEP_2) | instskip(NEXT) | instid1(VALU_DEP_3)
	v_not_b32_e32 v11, v9
	v_not_b32_e32 v10, v8
	s_delay_alu instid0(VALU_DEP_1) | instskip(SKIP_1) | instid1(VALU_DEP_1)
	v_add_nc_u64_e32 v[12:13], s[2:3], v[10:11]
                                        ; implicit-def: $vgpr10_vgpr11
	s_mov_b32 s2, exec_lo
	v_or_b32_e32 v15, s27, v13
	s_delay_alu instid0(VALU_DEP_1)
	v_cmpx_ne_u64_e32 0, v[14:15]
	s_xor_b32 s3, exec_lo, s2
	s_cbranch_execz .LBB1_21
; %bb.20:
	s_ashr_i32 s18, s27, 31
	s_mov_b32 s43, 0
	s_mov_b32 s19, s18
	v_dual_mov_b32 v19, v14 :: v_dual_ashrrev_i32 v10, 31, v13
	s_add_nc_u64 s[34:35], s[26:27], s[18:19]
	v_dual_mov_b32 v27, v14 :: v_dual_mov_b32 v15, v14
	s_xor_b64 s[34:35], s[34:35], s[18:19]
	s_delay_alu instid0(VALU_DEP_2) | instskip(SKIP_3) | instid1(VALU_DEP_1)
	v_mov_b32_e32 v11, v10
	s_cvt_f32_u32 s2, s34
	s_cvt_f32_u32 s19, s35
	s_sub_nc_u64 s[38:39], 0, s[34:35]
	v_add_nc_u64_e32 v[16:17], v[12:13], v[10:11]
	s_delay_alu instid0(SALU_CYCLE_1) | instskip(SKIP_1) | instid1(SALU_CYCLE_2)
	s_fmamk_f32 s2, s19, 0x4f800000, s2
	v_mov_b32_e32 v21, v14
	v_s_rcp_f32 s2, s2
	s_delay_alu instid0(VALU_DEP_2) | instskip(NEXT) | instid1(VALU_DEP_3)
	v_xor_b32_e32 v18, v16, v10
	v_xor_b32_e32 v20, v17, v10
	;; [unrolled: 1-line block ×3, first 2 shown]
	s_delay_alu instid0(TRANS32_DEP_1) | instskip(NEXT) | instid1(SALU_CYCLE_3)
	s_mul_f32 s2, s2, 0x5f7ffffc
	s_mul_f32 s19, s2, 0x2f800000
	s_delay_alu instid0(SALU_CYCLE_3) | instskip(NEXT) | instid1(SALU_CYCLE_3)
	s_trunc_f32 s19, s19
	s_fmamk_f32 s2, s19, 0xcf800000, s2
	s_cvt_u32_f32 s37, s19
	s_delay_alu instid0(SALU_CYCLE_2) | instskip(NEXT) | instid1(SALU_CYCLE_3)
	s_cvt_u32_f32 s36, s2
	s_mul_u64 s[40:41], s[38:39], s[36:37]
	s_delay_alu instid0(SALU_CYCLE_1)
	s_mul_hi_u32 s45, s36, s41
	s_mul_i32 s44, s36, s41
	s_mul_hi_u32 s42, s36, s40
	s_mul_i32 s19, s37, s40
	s_add_nc_u64 s[44:45], s[42:43], s[44:45]
	s_mul_hi_u32 s2, s37, s40
	s_mul_hi_u32 s33, s37, s41
	s_add_co_u32 s19, s44, s19
	s_add_co_ci_u32 s42, s45, s2
	s_mul_i32 s40, s37, s41
	s_add_co_ci_u32 s41, s33, 0
	s_delay_alu instid0(SALU_CYCLE_1) | instskip(NEXT) | instid1(SALU_CYCLE_1)
	s_add_nc_u64 s[40:41], s[42:43], s[40:41]
	s_add_co_u32 s36, s36, s40
	s_cselect_b32 s2, -1, 0
	s_delay_alu instid0(SALU_CYCLE_1) | instskip(SKIP_1) | instid1(SALU_CYCLE_1)
	s_cmp_lg_u32 s2, 0
	s_add_co_ci_u32 s37, s37, s41
	s_mul_u64 s[38:39], s[38:39], s[36:37]
	s_delay_alu instid0(SALU_CYCLE_1)
	s_mul_hi_u32 s41, s36, s39
	s_mul_i32 s40, s36, s39
	s_mul_hi_u32 s42, s36, s38
	s_mul_i32 s19, s37, s38
	s_add_nc_u64 s[40:41], s[42:43], s[40:41]
	s_mul_hi_u32 s2, s37, s38
	s_mul_hi_u32 s33, s37, s39
	s_add_co_u32 s19, s40, s19
	s_add_co_ci_u32 s42, s41, s2
	s_mul_i32 s38, s37, s39
	s_add_co_ci_u32 s39, s33, 0
	s_delay_alu instid0(SALU_CYCLE_1) | instskip(NEXT) | instid1(SALU_CYCLE_1)
	s_add_nc_u64 s[38:39], s[42:43], s[38:39]
	s_add_co_u32 s2, s36, s38
	s_cselect_b32 s19, -1, 0
	v_mul_hi_u32 v26, v18, s2
	s_cmp_lg_u32 s19, 0
	s_add_co_ci_u32 s42, s37, s39
	s_mov_b64 s[36:37], 0xffffffff
	v_mul_u64_e32 v[22:23], s[42:43], v[18:19]
	s_and_b64 s[36:37], s[2:3], s[36:37]
	v_mul_u64_e32 v[24:25], s[42:43], v[20:21]
	v_mul_u64_e32 v[16:17], s[36:37], v[20:21]
	s_delay_alu instid0(VALU_DEP_3) | instskip(NEXT) | instid1(VALU_DEP_1)
	v_add_nc_u64_e32 v[22:23], v[26:27], v[22:23]
	v_add_co_u32 v11, vcc_lo, v22, v16
	s_delay_alu instid0(VALU_DEP_2) | instskip(SKIP_1) | instid1(VALU_DEP_1)
	v_add_co_ci_u32_e32 v14, vcc_lo, v23, v17, vcc_lo
	v_add_co_ci_u32_e32 v25, vcc_lo, 0, v25, vcc_lo
	v_add_nc_u64_e32 v[14:15], v[14:15], v[24:25]
	s_delay_alu instid0(VALU_DEP_1) | instskip(NEXT) | instid1(VALU_DEP_1)
	v_mul_u64_e32 v[16:17], s[34:35], v[14:15]
	v_sub_nc_u32_e32 v11, v20, v17
	s_delay_alu instid0(VALU_DEP_2) | instskip(NEXT) | instid1(VALU_DEP_1)
	v_sub_co_u32 v16, vcc_lo, v18, v16
	v_sub_co_ci_u32_e64 v20, null, v20, v17, vcc_lo
	s_delay_alu instid0(VALU_DEP_3) | instskip(NEXT) | instid1(VALU_DEP_3)
	v_subrev_co_ci_u32_e64 v11, null, s35, v11, vcc_lo
	v_sub_co_u32 v18, s2, v16, s34
	s_delay_alu instid0(VALU_DEP_1) | instskip(NEXT) | instid1(VALU_DEP_2)
	v_subrev_co_ci_u32_e64 v11, null, 0, v11, s2
	v_cmp_le_u32_e32 vcc_lo, s34, v18
	v_cndmask_b32_e64 v17, 0, -1, vcc_lo
	s_delay_alu instid0(VALU_DEP_3)
	v_cmp_le_u32_e32 vcc_lo, s35, v11
	v_cndmask_b32_e64 v18, 0, -1, vcc_lo
	v_cmp_le_u32_e32 vcc_lo, s34, v16
	v_cndmask_b32_e64 v21, 0, -1, vcc_lo
	;; [unrolled: 2-line block ×3, first 2 shown]
	v_cmp_eq_u32_e32 vcc_lo, s35, v11
	v_cndmask_b32_e32 v11, v18, v17, vcc_lo
	v_cmp_eq_u32_e32 vcc_lo, s35, v20
	v_add_nc_u64_e32 v[16:17], 2, v[14:15]
	v_add_nc_u64_e32 v[18:19], 1, v[14:15]
	v_cndmask_b32_e32 v20, v22, v21, vcc_lo
	v_cmp_ne_u32_e32 vcc_lo, 0, v11
	s_delay_alu instid0(VALU_DEP_2) | instskip(NEXT) | instid1(VALU_DEP_4)
	v_cmp_ne_u32_e64 s2, 0, v20
	v_dual_cndmask_b32 v16, v18, v16 :: v_dual_cndmask_b32 v11, v19, v17
	s_delay_alu instid0(VALU_DEP_1) | instskip(SKIP_1) | instid1(VALU_DEP_2)
	v_dual_cndmask_b32 v14, v14, v16, s2 :: v_dual_cndmask_b32 v15, v15, v11, s2
	v_mov_b32_e32 v11, v10
	v_xor_b32_e32 v14, v14, v10
	s_delay_alu instid0(VALU_DEP_3) | instskip(NEXT) | instid1(VALU_DEP_1)
	v_xor_b32_e32 v15, v15, v10
	v_sub_nc_u64_e32 v[10:11], v[14:15], v[10:11]
.LBB1_21:
	s_or_saveexec_b32 s2, s3
	v_cvt_f32_u32_e32 v18, s26
	s_xor_b32 exec_lo, exec_lo, s2
	s_cbranch_execz .LBB1_23
; %bb.22:
	s_delay_alu instid0(VALU_DEP_1) | instskip(SKIP_2) | instid1(TRANS32_DEP_1)
	v_rcp_iflag_f32_e32 v10, v18
	s_sub_co_i32 s3, 0, s26
	v_nop
	v_mul_f32_e32 v10, 0x4f7ffffe, v10
	s_delay_alu instid0(VALU_DEP_1) | instskip(NEXT) | instid1(VALU_DEP_1)
	v_cvt_u32_f32_e32 v10, v10
	v_mul_lo_u32 v11, s3, v10
	s_delay_alu instid0(VALU_DEP_1) | instskip(NEXT) | instid1(VALU_DEP_1)
	v_mul_hi_u32 v11, v10, v11
	v_add_nc_u32_e32 v10, v10, v11
	s_delay_alu instid0(VALU_DEP_1) | instskip(NEXT) | instid1(VALU_DEP_1)
	v_mul_hi_u32 v10, v12, v10
	v_mul_lo_u32 v11, v10, s26
	s_delay_alu instid0(VALU_DEP_1) | instskip(NEXT) | instid1(VALU_DEP_1)
	v_sub_nc_u32_e32 v11, v12, v11
	v_subrev_nc_u32_e32 v15, s26, v11
	v_cmp_le_u32_e32 vcc_lo, s26, v11
	s_delay_alu instid0(VALU_DEP_2) | instskip(NEXT) | instid1(VALU_DEP_1)
	v_dual_cndmask_b32 v11, v11, v15 :: v_dual_add_nc_u32 v14, 1, v10
	v_cndmask_b32_e32 v10, v10, v14, vcc_lo
	s_delay_alu instid0(VALU_DEP_2) | instskip(NEXT) | instid1(VALU_DEP_2)
	v_cmp_le_u32_e32 vcc_lo, s26, v11
	v_dual_mov_b32 v11, 0 :: v_dual_add_nc_u32 v14, 1, v10
	s_delay_alu instid0(VALU_DEP_1)
	v_cndmask_b32_e32 v10, v10, v14, vcc_lo
.LBB1_23:
	s_or_b32 exec_lo, exec_lo, s2
	v_add_nc_u64_e32 v[16:17], s[6:7], v[12:13]
                                        ; implicit-def: $vgpr12_vgpr13
	s_mov_b32 s2, exec_lo
	s_delay_alu instid0(VALU_DEP_1) | instskip(NEXT) | instid1(VALU_DEP_1)
	v_dual_mov_b32 v14, 0 :: v_dual_bitop2_b32 v15, s27, v17 bitop3:0x54
	v_cmpx_ne_u64_e32 0, v[14:15]
	s_xor_b32 s3, exec_lo, s2
	s_cbranch_execz .LBB1_25
; %bb.24:
	s_ashr_i32 s18, s27, 31
	s_mov_b32 s43, 0
	s_mov_b32 s19, s18
	v_dual_mov_b32 v19, v14 :: v_dual_ashrrev_i32 v12, 31, v17
	s_add_nc_u64 s[34:35], s[26:27], s[18:19]
	v_mov_b32_e32 v21, v14
	s_xor_b64 s[34:35], s[34:35], s[18:19]
	s_delay_alu instid0(VALU_DEP_2)
	v_mov_b32_e32 v13, v12
	s_cvt_f32_u32 s2, s34
	s_cvt_f32_u32 s19, s35
	s_sub_nc_u64 s[38:39], 0, s[34:35]
	v_mov_b32_e32 v27, v14
	v_add_nc_u64_e32 v[16:17], v[16:17], v[12:13]
	s_fmamk_f32 s2, s19, 0x4f800000, s2
	v_mov_b32_e32 v15, v14
	s_delay_alu instid0(SALU_CYCLE_2) | instskip(NEXT) | instid1(VALU_DEP_2)
	v_s_rcp_f32 s2, s2
	v_xor_b32_e32 v18, v16, v12
	s_delay_alu instid0(VALU_DEP_3) | instskip(SKIP_1) | instid1(TRANS32_DEP_1)
	v_xor_b32_e32 v20, v17, v12
	v_xor_b32_e32 v12, s18, v12
	s_mul_f32 s2, s2, 0x5f7ffffc
	s_delay_alu instid0(SALU_CYCLE_3) | instskip(NEXT) | instid1(SALU_CYCLE_3)
	s_mul_f32 s19, s2, 0x2f800000
	s_trunc_f32 s19, s19
	s_delay_alu instid0(SALU_CYCLE_3) | instskip(SKIP_1) | instid1(SALU_CYCLE_2)
	s_fmamk_f32 s2, s19, 0xcf800000, s2
	s_cvt_u32_f32 s37, s19
	s_cvt_u32_f32 s36, s2
	s_delay_alu instid0(SALU_CYCLE_3) | instskip(NEXT) | instid1(SALU_CYCLE_1)
	s_mul_u64 s[40:41], s[38:39], s[36:37]
	s_mul_hi_u32 s45, s36, s41
	s_mul_i32 s44, s36, s41
	s_mul_hi_u32 s42, s36, s40
	s_mul_i32 s19, s37, s40
	s_add_nc_u64 s[44:45], s[42:43], s[44:45]
	s_mul_hi_u32 s2, s37, s40
	s_mul_hi_u32 s27, s37, s41
	s_add_co_u32 s19, s44, s19
	s_add_co_ci_u32 s42, s45, s2
	s_mul_i32 s40, s37, s41
	s_add_co_ci_u32 s41, s27, 0
	s_delay_alu instid0(SALU_CYCLE_1) | instskip(NEXT) | instid1(SALU_CYCLE_1)
	s_add_nc_u64 s[40:41], s[42:43], s[40:41]
	s_add_co_u32 s36, s36, s40
	s_cselect_b32 s2, -1, 0
	s_delay_alu instid0(SALU_CYCLE_1) | instskip(SKIP_1) | instid1(SALU_CYCLE_1)
	s_cmp_lg_u32 s2, 0
	s_add_co_ci_u32 s37, s37, s41
	s_mul_u64 s[38:39], s[38:39], s[36:37]
	s_delay_alu instid0(SALU_CYCLE_1)
	s_mul_hi_u32 s41, s36, s39
	s_mul_i32 s40, s36, s39
	s_mul_hi_u32 s42, s36, s38
	s_mul_i32 s19, s37, s38
	s_add_nc_u64 s[40:41], s[42:43], s[40:41]
	s_mul_hi_u32 s2, s37, s38
	s_mul_hi_u32 s27, s37, s39
	s_add_co_u32 s19, s40, s19
	s_add_co_ci_u32 s42, s41, s2
	s_mul_i32 s38, s37, s39
	s_add_co_ci_u32 s39, s27, 0
	s_delay_alu instid0(SALU_CYCLE_1) | instskip(NEXT) | instid1(SALU_CYCLE_1)
	s_add_nc_u64 s[38:39], s[42:43], s[38:39]
	s_add_co_u32 s2, s36, s38
	s_cselect_b32 s19, -1, 0
	v_mul_hi_u32 v26, v18, s2
	s_cmp_lg_u32 s19, 0
	s_add_co_ci_u32 s42, s37, s39
	s_mov_b64 s[36:37], 0xffffffff
	v_mul_u64_e32 v[22:23], s[42:43], v[18:19]
	s_and_b64 s[36:37], s[2:3], s[36:37]
	v_mul_u64_e32 v[24:25], s[42:43], v[20:21]
	v_mul_u64_e32 v[16:17], s[36:37], v[20:21]
	s_delay_alu instid0(VALU_DEP_3) | instskip(NEXT) | instid1(VALU_DEP_1)
	v_add_nc_u64_e32 v[22:23], v[26:27], v[22:23]
	v_add_co_u32 v13, vcc_lo, v22, v16
	s_delay_alu instid0(VALU_DEP_2) | instskip(SKIP_1) | instid1(VALU_DEP_1)
	v_add_co_ci_u32_e32 v14, vcc_lo, v23, v17, vcc_lo
	v_add_co_ci_u32_e32 v25, vcc_lo, 0, v25, vcc_lo
	v_add_nc_u64_e32 v[14:15], v[14:15], v[24:25]
	s_delay_alu instid0(VALU_DEP_1) | instskip(NEXT) | instid1(VALU_DEP_1)
	v_mul_u64_e32 v[16:17], s[34:35], v[14:15]
	v_sub_nc_u32_e32 v13, v20, v17
	s_delay_alu instid0(VALU_DEP_2) | instskip(NEXT) | instid1(VALU_DEP_1)
	v_sub_co_u32 v16, vcc_lo, v18, v16
	v_sub_co_ci_u32_e64 v20, null, v20, v17, vcc_lo
	s_delay_alu instid0(VALU_DEP_3) | instskip(NEXT) | instid1(VALU_DEP_3)
	v_subrev_co_ci_u32_e64 v13, null, s35, v13, vcc_lo
	v_sub_co_u32 v18, s2, v16, s34
	s_delay_alu instid0(VALU_DEP_1) | instskip(NEXT) | instid1(VALU_DEP_2)
	v_subrev_co_ci_u32_e64 v13, null, 0, v13, s2
	v_cmp_le_u32_e32 vcc_lo, s34, v18
	v_cndmask_b32_e64 v17, 0, -1, vcc_lo
	s_delay_alu instid0(VALU_DEP_3)
	v_cmp_le_u32_e32 vcc_lo, s35, v13
	v_cndmask_b32_e64 v18, 0, -1, vcc_lo
	v_cmp_le_u32_e32 vcc_lo, s34, v16
	v_cndmask_b32_e64 v21, 0, -1, vcc_lo
	;; [unrolled: 2-line block ×3, first 2 shown]
	v_cmp_eq_u32_e32 vcc_lo, s35, v13
	v_cndmask_b32_e32 v13, v18, v17, vcc_lo
	v_cmp_eq_u32_e32 vcc_lo, s35, v20
	v_add_nc_u64_e32 v[16:17], 2, v[14:15]
	v_add_nc_u64_e32 v[18:19], 1, v[14:15]
	v_cndmask_b32_e32 v20, v22, v21, vcc_lo
	v_cmp_ne_u32_e32 vcc_lo, 0, v13
	s_delay_alu instid0(VALU_DEP_2) | instskip(NEXT) | instid1(VALU_DEP_4)
	v_cmp_ne_u32_e64 s2, 0, v20
	v_dual_cndmask_b32 v16, v18, v16 :: v_dual_cndmask_b32 v13, v19, v17
                                        ; implicit-def: $vgpr18
	s_delay_alu instid0(VALU_DEP_1) | instskip(SKIP_1) | instid1(VALU_DEP_2)
	v_dual_cndmask_b32 v14, v14, v16, s2 :: v_dual_cndmask_b32 v15, v15, v13, s2
	v_mov_b32_e32 v13, v12
                                        ; implicit-def: $vgpr16_vgpr17
	v_xor_b32_e32 v14, v14, v12
	s_delay_alu instid0(VALU_DEP_3) | instskip(NEXT) | instid1(VALU_DEP_1)
	v_xor_b32_e32 v15, v15, v12
	v_sub_nc_u64_e32 v[12:13], v[14:15], v[12:13]
.LBB1_25:
	s_and_not1_saveexec_b32 s2, s3
	s_cbranch_execz .LBB1_27
; %bb.26:
	v_rcp_iflag_f32_e32 v12, v18
	s_sub_co_i32 s3, 0, s26
	v_nop
	s_delay_alu instid0(TRANS32_DEP_1) | instskip(NEXT) | instid1(VALU_DEP_1)
	v_mul_f32_e32 v12, 0x4f7ffffe, v12
	v_cvt_u32_f32_e32 v12, v12
	s_delay_alu instid0(VALU_DEP_1) | instskip(NEXT) | instid1(VALU_DEP_1)
	v_mul_lo_u32 v13, s3, v12
	v_mul_hi_u32 v13, v12, v13
	s_delay_alu instid0(VALU_DEP_1) | instskip(NEXT) | instid1(VALU_DEP_1)
	v_add_nc_u32_e32 v12, v12, v13
	v_mul_hi_u32 v12, v16, v12
	s_delay_alu instid0(VALU_DEP_1) | instskip(NEXT) | instid1(VALU_DEP_1)
	v_mul_lo_u32 v13, v12, s26
	v_dual_add_nc_u32 v14, 1, v12 :: v_dual_sub_nc_u32 v13, v16, v13
	s_delay_alu instid0(VALU_DEP_1) | instskip(SKIP_1) | instid1(VALU_DEP_2)
	v_subrev_nc_u32_e32 v15, s26, v13
	v_cmp_le_u32_e32 vcc_lo, s26, v13
	v_dual_cndmask_b32 v13, v13, v15 :: v_dual_cndmask_b32 v12, v12, v14
	s_delay_alu instid0(VALU_DEP_1) | instskip(NEXT) | instid1(VALU_DEP_2)
	v_cmp_le_u32_e32 vcc_lo, s26, v13
	v_dual_mov_b32 v13, 0 :: v_dual_add_nc_u32 v14, 1, v12
	s_delay_alu instid0(VALU_DEP_1)
	v_cndmask_b32_e32 v12, v12, v14, vcc_lo
.LBB1_27:
	s_or_b32 exec_lo, exec_lo, s2
	v_mul_u64_e32 v[14:15], s[16:17], v[6:7]
	s_add_nc_u64 s[2:3], s[20:21], s[24:25]
	v_mov_b32_e32 v20, 0
	s_delay_alu instid0(VALU_DEP_2) | instskip(NEXT) | instid1(VALU_DEP_3)
	v_not_b32_e32 v17, v15
	v_not_b32_e32 v16, v14
	s_delay_alu instid0(VALU_DEP_1) | instskip(SKIP_1) | instid1(VALU_DEP_1)
	v_add_nc_u64_e32 v[18:19], s[2:3], v[16:17]
                                        ; implicit-def: $vgpr16_vgpr17
	s_mov_b32 s2, exec_lo
	v_or_b32_e32 v21, s25, v19
	s_delay_alu instid0(VALU_DEP_1)
	v_cmpx_ne_u64_e32 0, v[20:21]
	s_xor_b32 s3, exec_lo, s2
	s_cbranch_execz .LBB1_29
; %bb.28:
	s_ashr_i32 s16, s25, 31
	s_mov_b32 s41, 0
	s_mov_b32 s17, s16
	v_dual_mov_b32 v25, v20 :: v_dual_ashrrev_i32 v16, 31, v19
	s_add_nc_u64 s[18:19], s[24:25], s[16:17]
	v_dual_mov_b32 v33, v20 :: v_dual_mov_b32 v21, v20
	s_xor_b64 s[18:19], s[18:19], s[16:17]
	s_delay_alu instid0(VALU_DEP_2) | instskip(SKIP_3) | instid1(VALU_DEP_1)
	v_mov_b32_e32 v17, v16
	s_cvt_f32_u32 s2, s18
	s_cvt_f32_u32 s17, s19
	s_sub_nc_u64 s[36:37], 0, s[18:19]
	v_add_nc_u64_e32 v[22:23], v[18:19], v[16:17]
	s_delay_alu instid0(SALU_CYCLE_1) | instskip(SKIP_1) | instid1(SALU_CYCLE_2)
	s_fmamk_f32 s2, s17, 0x4f800000, s2
	v_mov_b32_e32 v27, v20
	v_s_rcp_f32 s2, s2
	s_delay_alu instid0(VALU_DEP_2) | instskip(NEXT) | instid1(VALU_DEP_3)
	v_xor_b32_e32 v24, v22, v16
	v_xor_b32_e32 v26, v23, v16
	;; [unrolled: 1-line block ×3, first 2 shown]
	s_delay_alu instid0(TRANS32_DEP_1) | instskip(NEXT) | instid1(SALU_CYCLE_3)
	s_mul_f32 s2, s2, 0x5f7ffffc
	s_mul_f32 s17, s2, 0x2f800000
	s_delay_alu instid0(SALU_CYCLE_3) | instskip(NEXT) | instid1(SALU_CYCLE_3)
	s_trunc_f32 s17, s17
	s_fmamk_f32 s2, s17, 0xcf800000, s2
	s_cvt_u32_f32 s35, s17
	s_delay_alu instid0(SALU_CYCLE_2) | instskip(NEXT) | instid1(SALU_CYCLE_3)
	s_cvt_u32_f32 s34, s2
	s_mul_u64 s[38:39], s[36:37], s[34:35]
	s_delay_alu instid0(SALU_CYCLE_1)
	s_mul_hi_u32 s43, s34, s39
	s_mul_i32 s42, s34, s39
	s_mul_hi_u32 s40, s34, s38
	s_mul_i32 s17, s35, s38
	s_add_nc_u64 s[42:43], s[40:41], s[42:43]
	s_mul_hi_u32 s2, s35, s38
	s_mul_hi_u32 s21, s35, s39
	s_add_co_u32 s17, s42, s17
	s_add_co_ci_u32 s40, s43, s2
	s_mul_i32 s38, s35, s39
	s_add_co_ci_u32 s39, s21, 0
	s_delay_alu instid0(SALU_CYCLE_1) | instskip(NEXT) | instid1(SALU_CYCLE_1)
	s_add_nc_u64 s[38:39], s[40:41], s[38:39]
	s_add_co_u32 s34, s34, s38
	s_cselect_b32 s2, -1, 0
	s_delay_alu instid0(SALU_CYCLE_1) | instskip(SKIP_1) | instid1(SALU_CYCLE_1)
	s_cmp_lg_u32 s2, 0
	s_add_co_ci_u32 s35, s35, s39
	s_mul_u64 s[36:37], s[36:37], s[34:35]
	s_delay_alu instid0(SALU_CYCLE_1)
	s_mul_hi_u32 s39, s34, s37
	s_mul_i32 s38, s34, s37
	s_mul_hi_u32 s40, s34, s36
	s_mul_i32 s17, s35, s36
	s_add_nc_u64 s[38:39], s[40:41], s[38:39]
	s_mul_hi_u32 s2, s35, s36
	s_mul_hi_u32 s21, s35, s37
	s_add_co_u32 s17, s38, s17
	s_add_co_ci_u32 s40, s39, s2
	s_mul_i32 s36, s35, s37
	s_add_co_ci_u32 s37, s21, 0
	s_delay_alu instid0(SALU_CYCLE_1) | instskip(NEXT) | instid1(SALU_CYCLE_1)
	s_add_nc_u64 s[36:37], s[40:41], s[36:37]
	s_add_co_u32 s2, s34, s36
	s_cselect_b32 s17, -1, 0
	v_mul_hi_u32 v32, v24, s2
	s_cmp_lg_u32 s17, 0
	s_add_co_ci_u32 s40, s35, s37
	s_mov_b64 s[34:35], 0xffffffff
	v_mul_u64_e32 v[28:29], s[40:41], v[24:25]
	s_and_b64 s[34:35], s[2:3], s[34:35]
	v_mul_u64_e32 v[30:31], s[40:41], v[26:27]
	v_mul_u64_e32 v[22:23], s[34:35], v[26:27]
	s_delay_alu instid0(VALU_DEP_3) | instskip(NEXT) | instid1(VALU_DEP_1)
	v_add_nc_u64_e32 v[28:29], v[32:33], v[28:29]
	v_add_co_u32 v15, vcc_lo, v28, v22
	s_delay_alu instid0(VALU_DEP_2) | instskip(SKIP_1) | instid1(VALU_DEP_1)
	v_add_co_ci_u32_e32 v20, vcc_lo, v29, v23, vcc_lo
	v_add_co_ci_u32_e32 v31, vcc_lo, 0, v31, vcc_lo
	v_add_nc_u64_e32 v[20:21], v[20:21], v[30:31]
	s_delay_alu instid0(VALU_DEP_1) | instskip(NEXT) | instid1(VALU_DEP_1)
	v_mul_u64_e32 v[22:23], s[18:19], v[20:21]
	v_sub_nc_u32_e32 v15, v26, v23
	s_delay_alu instid0(VALU_DEP_2) | instskip(NEXT) | instid1(VALU_DEP_1)
	v_sub_co_u32 v17, vcc_lo, v24, v22
	v_sub_co_ci_u32_e64 v26, null, v26, v23, vcc_lo
	s_delay_alu instid0(VALU_DEP_3) | instskip(NEXT) | instid1(VALU_DEP_3)
	v_subrev_co_ci_u32_e64 v15, null, s19, v15, vcc_lo
	v_sub_co_u32 v22, s2, v17, s18
	v_add_nc_u64_e32 v[24:25], 1, v[20:21]
	s_delay_alu instid0(VALU_DEP_3) | instskip(NEXT) | instid1(VALU_DEP_3)
	v_subrev_co_ci_u32_e64 v15, null, 0, v15, s2
	v_cmp_le_u32_e32 vcc_lo, s18, v22
	v_cndmask_b32_e64 v22, 0, -1, vcc_lo
	s_delay_alu instid0(VALU_DEP_3)
	v_cmp_le_u32_e32 vcc_lo, s19, v15
	v_cndmask_b32_e64 v23, 0, -1, vcc_lo
	v_cmp_le_u32_e32 vcc_lo, s18, v17
	v_cndmask_b32_e64 v17, 0, -1, vcc_lo
	;; [unrolled: 2-line block ×3, first 2 shown]
	v_cmp_eq_u32_e32 vcc_lo, s19, v15
	v_cndmask_b32_e32 v15, v23, v22, vcc_lo
	v_cmp_eq_u32_e32 vcc_lo, s19, v26
	v_add_nc_u64_e32 v[22:23], 2, v[20:21]
	v_cndmask_b32_e32 v17, v27, v17, vcc_lo
	s_delay_alu instid0(VALU_DEP_4) | instskip(NEXT) | instid1(VALU_DEP_2)
	v_cmp_ne_u32_e32 vcc_lo, 0, v15
	v_cmp_ne_u32_e64 s2, 0, v17
	s_delay_alu instid0(VALU_DEP_4) | instskip(NEXT) | instid1(VALU_DEP_1)
	v_dual_cndmask_b32 v15, v25, v23, vcc_lo :: v_dual_cndmask_b32 v17, v24, v22, vcc_lo
	v_dual_cndmask_b32 v15, v21, v15, s2 :: v_dual_cndmask_b32 v20, v20, v17, s2
	s_delay_alu instid0(VALU_DEP_1) | instskip(NEXT) | instid1(VALU_DEP_2)
	v_dual_mov_b32 v17, v16 :: v_dual_bitop2_b32 v21, v15, v16 bitop3:0x14
	v_xor_b32_e32 v20, v20, v16
	s_delay_alu instid0(VALU_DEP_1)
	v_sub_nc_u64_e32 v[16:17], v[20:21], v[16:17]
.LBB1_29:
	s_or_saveexec_b32 s2, s3
	v_cvt_f32_u32_e32 v15, s24
	s_xor_b32 exec_lo, exec_lo, s2
	s_cbranch_execz .LBB1_31
; %bb.30:
	s_delay_alu instid0(VALU_DEP_1) | instskip(SKIP_2) | instid1(TRANS32_DEP_1)
	v_rcp_iflag_f32_e32 v16, v15
	s_sub_co_i32 s3, 0, s24
	v_nop
	v_mul_f32_e32 v16, 0x4f7ffffe, v16
	s_delay_alu instid0(VALU_DEP_1) | instskip(NEXT) | instid1(VALU_DEP_1)
	v_cvt_u32_f32_e32 v16, v16
	v_mul_lo_u32 v17, s3, v16
	s_delay_alu instid0(VALU_DEP_1) | instskip(NEXT) | instid1(VALU_DEP_1)
	v_mul_hi_u32 v17, v16, v17
	v_add_nc_u32_e32 v16, v16, v17
	s_delay_alu instid0(VALU_DEP_1) | instskip(NEXT) | instid1(VALU_DEP_1)
	v_mul_hi_u32 v16, v18, v16
	v_mul_lo_u32 v17, v16, s24
	s_delay_alu instid0(VALU_DEP_1) | instskip(NEXT) | instid1(VALU_DEP_1)
	v_sub_nc_u32_e32 v17, v18, v17
	v_subrev_nc_u32_e32 v21, s24, v17
	v_cmp_le_u32_e32 vcc_lo, s24, v17
	s_delay_alu instid0(VALU_DEP_2) | instskip(NEXT) | instid1(VALU_DEP_1)
	v_dual_cndmask_b32 v17, v17, v21 :: v_dual_add_nc_u32 v20, 1, v16
	v_cndmask_b32_e32 v16, v16, v20, vcc_lo
	s_delay_alu instid0(VALU_DEP_2) | instskip(NEXT) | instid1(VALU_DEP_2)
	v_cmp_le_u32_e32 vcc_lo, s24, v17
	v_dual_mov_b32 v17, 0 :: v_dual_add_nc_u32 v20, 1, v16
	s_delay_alu instid0(VALU_DEP_1)
	v_cndmask_b32_e32 v16, v16, v20, vcc_lo
.LBB1_31:
	s_or_b32 exec_lo, exec_lo, s2
	v_add_nc_u64_e32 v[20:21], s[4:5], v[18:19]
                                        ; implicit-def: $vgpr22_vgpr23
	s_mov_b32 s2, exec_lo
	s_delay_alu instid0(VALU_DEP_1) | instskip(NEXT) | instid1(VALU_DEP_1)
	v_dual_mov_b32 v18, 0 :: v_dual_bitop2_b32 v19, s25, v21 bitop3:0x54
	v_cmpx_ne_u64_e32 0, v[18:19]
	s_xor_b32 s3, exec_lo, s2
	s_cbranch_execz .LBB1_33
; %bb.32:
	s_ashr_i32 s16, s25, 31
	s_mov_b32 s41, 0
	s_mov_b32 s17, s16
	v_dual_mov_b32 v25, v18 :: v_dual_ashrrev_i32 v22, 31, v21
	s_add_nc_u64 s[18:19], s[24:25], s[16:17]
	v_dual_mov_b32 v33, v18 :: v_dual_mov_b32 v19, v18
	s_xor_b64 s[18:19], s[18:19], s[16:17]
	s_delay_alu instid0(VALU_DEP_2) | instskip(SKIP_3) | instid1(VALU_DEP_1)
	v_mov_b32_e32 v23, v22
	s_cvt_f32_u32 s2, s18
	s_cvt_f32_u32 s17, s19
	s_sub_nc_u64 s[36:37], 0, s[18:19]
	v_add_nc_u64_e32 v[20:21], v[20:21], v[22:23]
	s_delay_alu instid0(SALU_CYCLE_1) | instskip(SKIP_1) | instid1(SALU_CYCLE_2)
	s_fmamk_f32 s2, s17, 0x4f800000, s2
	v_mov_b32_e32 v27, v18
	v_s_rcp_f32 s2, s2
	s_delay_alu instid0(VALU_DEP_2) | instskip(NEXT) | instid1(VALU_DEP_3)
	v_xor_b32_e32 v24, v20, v22
	v_xor_b32_e32 v26, v21, v22
	s_delay_alu instid0(TRANS32_DEP_1) | instskip(NEXT) | instid1(SALU_CYCLE_3)
	s_mul_f32 s2, s2, 0x5f7ffffc
	s_mul_f32 s17, s2, 0x2f800000
	s_delay_alu instid0(SALU_CYCLE_3) | instskip(NEXT) | instid1(SALU_CYCLE_3)
	s_trunc_f32 s17, s17
	s_fmamk_f32 s2, s17, 0xcf800000, s2
	s_cvt_u32_f32 s35, s17
	s_delay_alu instid0(SALU_CYCLE_2) | instskip(NEXT) | instid1(SALU_CYCLE_3)
	s_cvt_u32_f32 s34, s2
	s_mul_u64 s[38:39], s[36:37], s[34:35]
	s_delay_alu instid0(SALU_CYCLE_1)
	s_mul_hi_u32 s43, s34, s39
	s_mul_i32 s42, s34, s39
	s_mul_hi_u32 s40, s34, s38
	s_mul_i32 s17, s35, s38
	s_add_nc_u64 s[42:43], s[40:41], s[42:43]
	s_mul_hi_u32 s2, s35, s38
	s_mul_hi_u32 s21, s35, s39
	s_add_co_u32 s17, s42, s17
	s_add_co_ci_u32 s40, s43, s2
	s_mul_i32 s38, s35, s39
	s_add_co_ci_u32 s39, s21, 0
	s_delay_alu instid0(SALU_CYCLE_1) | instskip(NEXT) | instid1(SALU_CYCLE_1)
	s_add_nc_u64 s[38:39], s[40:41], s[38:39]
	s_add_co_u32 s34, s34, s38
	s_cselect_b32 s2, -1, 0
	s_delay_alu instid0(SALU_CYCLE_1) | instskip(SKIP_1) | instid1(SALU_CYCLE_1)
	s_cmp_lg_u32 s2, 0
	s_add_co_ci_u32 s35, s35, s39
	s_mul_u64 s[36:37], s[36:37], s[34:35]
	s_delay_alu instid0(SALU_CYCLE_1)
	s_mul_hi_u32 s39, s34, s37
	s_mul_i32 s38, s34, s37
	s_mul_hi_u32 s40, s34, s36
	s_mul_i32 s17, s35, s36
	s_add_nc_u64 s[38:39], s[40:41], s[38:39]
	s_mul_hi_u32 s2, s35, s36
	s_mul_hi_u32 s21, s35, s37
	s_add_co_u32 s17, s38, s17
	s_add_co_ci_u32 s40, s39, s2
	s_mul_i32 s36, s35, s37
	s_add_co_ci_u32 s37, s21, 0
	s_delay_alu instid0(SALU_CYCLE_1) | instskip(NEXT) | instid1(SALU_CYCLE_1)
	s_add_nc_u64 s[36:37], s[40:41], s[36:37]
	s_add_co_u32 s2, s34, s36
	s_cselect_b32 s17, -1, 0
	v_mul_hi_u32 v32, v24, s2
	s_cmp_lg_u32 s17, 0
	s_add_co_ci_u32 s40, s35, s37
	s_mov_b64 s[34:35], 0xffffffff
	v_mul_u64_e32 v[28:29], s[40:41], v[24:25]
	s_and_b64 s[34:35], s[2:3], s[34:35]
	v_mul_u64_e32 v[30:31], s[40:41], v[26:27]
	v_mul_u64_e32 v[20:21], s[34:35], v[26:27]
	s_delay_alu instid0(VALU_DEP_3) | instskip(NEXT) | instid1(VALU_DEP_1)
	v_add_nc_u64_e32 v[28:29], v[32:33], v[28:29]
	v_add_co_u32 v15, vcc_lo, v28, v20
	s_delay_alu instid0(VALU_DEP_2) | instskip(SKIP_1) | instid1(VALU_DEP_1)
	v_add_co_ci_u32_e32 v18, vcc_lo, v29, v21, vcc_lo
	v_add_co_ci_u32_e32 v31, vcc_lo, 0, v31, vcc_lo
	v_add_nc_u64_e32 v[18:19], v[18:19], v[30:31]
	s_delay_alu instid0(VALU_DEP_1) | instskip(NEXT) | instid1(VALU_DEP_1)
	v_mul_u64_e32 v[20:21], s[18:19], v[18:19]
	v_sub_nc_u32_e32 v15, v26, v21
	s_delay_alu instid0(VALU_DEP_2) | instskip(NEXT) | instid1(VALU_DEP_1)
	v_sub_co_u32 v20, vcc_lo, v24, v20
	v_sub_co_ci_u32_e64 v26, null, v26, v21, vcc_lo
	s_delay_alu instid0(VALU_DEP_3) | instskip(NEXT) | instid1(VALU_DEP_3)
	v_subrev_co_ci_u32_e64 v15, null, s19, v15, vcc_lo
	v_sub_co_u32 v23, s2, v20, s18
	v_add_nc_u64_e32 v[24:25], 1, v[18:19]
	s_delay_alu instid0(VALU_DEP_3) | instskip(NEXT) | instid1(VALU_DEP_3)
	v_subrev_co_ci_u32_e64 v15, null, 0, v15, s2
	v_cmp_le_u32_e32 vcc_lo, s18, v23
	v_cndmask_b32_e64 v21, 0, -1, vcc_lo
	s_delay_alu instid0(VALU_DEP_3)
	v_cmp_le_u32_e32 vcc_lo, s19, v15
	v_cndmask_b32_e64 v23, 0, -1, vcc_lo
	v_cmp_le_u32_e32 vcc_lo, s18, v20
	v_cndmask_b32_e64 v27, 0, -1, vcc_lo
	;; [unrolled: 2-line block ×3, first 2 shown]
	v_cmp_eq_u32_e32 vcc_lo, s19, v15
	v_cndmask_b32_e32 v15, v23, v21, vcc_lo
	v_cmp_eq_u32_e32 vcc_lo, s19, v26
	v_add_nc_u64_e32 v[20:21], 2, v[18:19]
	v_cndmask_b32_e32 v23, v28, v27, vcc_lo
	s_delay_alu instid0(VALU_DEP_4) | instskip(NEXT) | instid1(VALU_DEP_2)
	v_cmp_ne_u32_e32 vcc_lo, 0, v15
	v_cmp_ne_u32_e64 s2, 0, v23
	s_delay_alu instid0(VALU_DEP_4) | instskip(NEXT) | instid1(VALU_DEP_1)
	v_dual_cndmask_b32 v15, v25, v21, vcc_lo :: v_dual_cndmask_b32 v21, v24, v20, vcc_lo
	v_dual_cndmask_b32 v15, v19, v15, s2 :: v_dual_bitop2_b32 v20, s16, v22 bitop3:0x14
	s_delay_alu instid0(VALU_DEP_1) | instskip(NEXT) | instid1(VALU_DEP_2)
	v_dual_cndmask_b32 v18, v18, v21, s2 :: v_dual_mov_b32 v21, v20
	v_xor_b32_e32 v19, v15, v20
	s_delay_alu instid0(VALU_DEP_2) | instskip(NEXT) | instid1(VALU_DEP_1)
	v_xor_b32_e32 v18, v18, v20
                                        ; implicit-def: $vgpr15
	v_sub_nc_u64_e32 v[22:23], v[18:19], v[20:21]
                                        ; implicit-def: $vgpr20_vgpr21
.LBB1_33:
	s_or_saveexec_b32 s2, s3
	s_load_b64 s[34:35], s[0:1], 0x8
	s_xor_b32 exec_lo, exec_lo, s2
	s_cbranch_execz .LBB1_35
; %bb.34:
	v_rcp_iflag_f32_e32 v15, v15
	s_sub_co_i32 s3, 0, s24
	v_mov_b32_e32 v23, 0
	s_delay_alu instid0(TRANS32_DEP_1) | instskip(NEXT) | instid1(VALU_DEP_1)
	v_mul_f32_e32 v15, 0x4f7ffffe, v15
	v_cvt_u32_f32_e32 v15, v15
	s_delay_alu instid0(VALU_DEP_1) | instskip(NEXT) | instid1(VALU_DEP_1)
	v_mul_lo_u32 v18, s3, v15
	v_mul_hi_u32 v18, v15, v18
	s_delay_alu instid0(VALU_DEP_1) | instskip(NEXT) | instid1(VALU_DEP_1)
	v_add_nc_u32_e32 v15, v15, v18
	v_mul_hi_u32 v15, v20, v15
	s_delay_alu instid0(VALU_DEP_1) | instskip(NEXT) | instid1(VALU_DEP_1)
	v_mul_lo_u32 v18, v15, s24
	v_dual_add_nc_u32 v19, 1, v15 :: v_dual_sub_nc_u32 v18, v20, v18
	s_delay_alu instid0(VALU_DEP_1) | instskip(SKIP_1) | instid1(VALU_DEP_2)
	v_subrev_nc_u32_e32 v20, s24, v18
	v_cmp_le_u32_e32 vcc_lo, s24, v18
	v_dual_cndmask_b32 v18, v18, v20 :: v_dual_cndmask_b32 v15, v15, v19
	s_delay_alu instid0(VALU_DEP_1) | instskip(NEXT) | instid1(VALU_DEP_2)
	v_cmp_le_u32_e32 vcc_lo, s24, v18
	v_add_nc_u32_e32 v19, 1, v15
	s_delay_alu instid0(VALU_DEP_1)
	v_cndmask_b32_e32 v22, v15, v19, vcc_lo
.LBB1_35:
	s_or_b32 exec_lo, exec_lo, s2
	v_max_i64 v[10:11], v[10:11], 0
	s_mul_u64 s[2:3], s[28:29], s[14:15]
	v_max_i64 v[16:17], v[16:17], 0
	v_min_i64 v[12:13], s[14:15], v[12:13]
	v_mul_u64_e32 v[20:21], s[28:29], v[4:5]
	s_load_b64 s[16:17], s[0:1], 0x0
	v_sub_nc_u64_e64 v[8:9], v[8:9], s[22:23]
	s_mul_u64 s[14:15], s[14:15], s[12:13]
	s_mov_b64 s[18:19], 0
	s_mov_b32 s21, s24
	s_lshl_b64 s[14:15], s[14:15], 2
	v_mad_nc_u64_u32 v[18:19], s2, v2, v[10:11]
	v_mad_u32 v26, s24, v16, v14
	v_cmp_lt_i64_e32 vcc_lo, v[10:11], v[12:13]
	s_delay_alu instid0(VALU_DEP_3) | instskip(NEXT) | instid1(VALU_DEP_1)
	v_mad_u32 v15, s3, v2, v19
	v_mad_u32 v19, s2, v3, v15
	v_lshlrev_b64_e32 v[14:15], 2, v[16:17]
	s_delay_alu instid0(VALU_DEP_2) | instskip(SKIP_2) | instid1(VALU_DEP_2)
	v_mul_u64_e32 v[24:25], s[12:13], v[18:19]
	v_min_i64 v[18:19], s[12:13], v[22:23]
	s_lshl_b64 s[12:13], s[12:13], 2
	v_lshl_add_u64 v[22:23], v[24:25], 2, v[14:15]
	v_mov_b32_e32 v14, 0
	s_delay_alu instid0(VALU_DEP_3)
	v_cmp_lt_i64_e64 s2, v[16:17], v[18:19]
	v_subrev_nc_u32_e32 v15, s20, v26
	s_mov_b32 s20, 0
	s_wait_kmcnt 0x0
	v_add_nc_u64_e32 v[22:23], s[34:35], v[22:23]
	v_mov_b32_e32 v9, v14
	s_branch .LBB1_38
.LBB1_36:                               ;   in Loop: Header=BB1_38 Depth=1
	s_or_b32 exec_lo, exec_lo, s23
.LBB1_37:                               ;   in Loop: Header=BB1_38 Depth=1
	s_delay_alu instid0(SALU_CYCLE_1) | instskip(NEXT) | instid1(VALU_DEP_1)
	s_or_b32 exec_lo, exec_lo, s22
	v_add_nc_u64_e32 v[22:23], s[14:15], v[22:23]
	s_add_nc_u64 s[18:19], s[18:19], 1
	s_delay_alu instid0(SALU_CYCLE_1)
	s_cmp_eq_u64 s[18:19], s[28:29]
	s_cbranch_scc1 .LBB1_49
.LBB1_38:                               ; =>This Loop Header: Depth=1
                                        ;     Child Loop BB1_41 Depth 2
                                        ;       Child Loop BB1_43 Depth 3
	s_and_saveexec_b32 s22, vcc_lo
	s_cbranch_execz .LBB1_37
; %bb.39:                               ;   in Loop: Header=BB1_38 Depth=1
	v_add_nc_u64_e32 v[24:25], s[18:19], v[20:21]
	s_delay_alu instid0(VALU_DEP_2) | instskip(SKIP_2) | instid1(VALU_DEP_3)
	v_mov_b64_e32 v[26:27], v[22:23]
	v_mov_b64_e32 v[28:29], v[10:11]
	s_mov_b32 s23, 0
	v_mul_u64_e32 v[24:25], s[6:7], v[24:25]
	s_branch .LBB1_41
.LBB1_40:                               ;   in Loop: Header=BB1_41 Depth=2
	s_or_b32 exec_lo, exec_lo, s24
	v_add_nc_u64_e32 v[28:29], 1, v[28:29]
	v_add_nc_u64_e32 v[26:27], s[12:13], v[26:27]
	s_delay_alu instid0(VALU_DEP_2) | instskip(SKIP_1) | instid1(SALU_CYCLE_1)
	v_cmp_ge_i64_e64 s3, v[28:29], v[12:13]
	s_or_b32 s23, s3, s23
	s_and_not1_b32 exec_lo, exec_lo, s23
	s_cbranch_execz .LBB1_36
.LBB1_41:                               ;   Parent Loop BB1_38 Depth=1
                                        ; =>  This Loop Header: Depth=2
                                        ;       Child Loop BB1_43 Depth 3
	s_and_saveexec_b32 s24, s2
	s_cbranch_execz .LBB1_40
; %bb.42:                               ;   in Loop: Header=BB1_41 Depth=2
	s_delay_alu instid0(VALU_DEP_2) | instskip(SKIP_3) | instid1(VALU_DEP_3)
	v_mad_u32 v30, v28, s26, v8
	v_mov_b64_e32 v[32:33], v[14:15]
	v_mov_b64_e32 v[36:37], v[16:17]
	s_mov_b32 s25, 0
	v_ashrrev_i32_e32 v31, 31, v30
	s_delay_alu instid0(VALU_DEP_1) | instskip(NEXT) | instid1(VALU_DEP_1)
	v_add_nc_u64_e32 v[30:31], v[30:31], v[24:25]
	v_mul_u64_e32 v[34:35], s[4:5], v[30:31]
	v_mov_b64_e32 v[30:31], v[26:27]
	s_delay_alu instid0(VALU_DEP_2)
	v_lshl_add_u64 v[34:35], v[34:35], 2, s[16:17]
.LBB1_43:                               ;   Parent Loop BB1_38 Depth=1
                                        ;     Parent Loop BB1_41 Depth=2
                                        ; =>    This Inner Loop Header: Depth=3
	v_ashrrev_i64 v[38:39], 30, v[32:33]
	v_add_nc_u64_e32 v[36:37], 1, v[36:37]
	v_add_nc_u64_e32 v[32:33], s[20:21], v[32:33]
	s_delay_alu instid0(VALU_DEP_3) | instskip(NEXT) | instid1(VALU_DEP_3)
	v_add_nc_u64_e32 v[38:39], v[34:35], v[38:39]
	v_cmp_ge_i64_e64 s3, v[36:37], v[18:19]
	global_load_b32 v40, v[30:31], off
	global_load_b32 v41, v[38:39], off
	s_wait_xcnt 0x1
	v_add_nc_u64_e32 v[30:31], 4, v[30:31]
	s_or_b32 s25, s3, s25
	s_wait_loadcnt 0x0
	v_fmac_f32_e32 v9, v41, v40
	s_and_not1_b32 exec_lo, exec_lo, s25
	s_cbranch_execnz .LBB1_43
; %bb.44:                               ;   in Loop: Header=BB1_41 Depth=2
	s_or_b32 exec_lo, exec_lo, s25
	s_branch .LBB1_40
.LBB1_45:
                                        ; implicit-def: $vgpr8_vgpr9
	s_branch .LBB1_3
.LBB1_46:
                                        ; implicit-def: $vgpr10_vgpr11
	s_branch .LBB1_10
.LBB1_47:
                                        ; implicit-def: $vgpr4_vgpr5
	s_branch .LBB1_17
.LBB1_48:
	v_mov_b32_e32 v9, 0
.LBB1_49:
	v_mad_nc_u64_u32 v[2:3], v4, s30, v[2:3]
	s_load_b64 s[0:1], s[0:1], 0x10
	s_delay_alu instid0(VALU_DEP_1) | instskip(NEXT) | instid1(VALU_DEP_2)
	v_mad_u32 v3, v5, s30, v3
	v_mad_nc_u64_u32 v[0:1], v2, s10, v[0:1]
	s_delay_alu instid0(VALU_DEP_2) | instskip(NEXT) | instid1(VALU_DEP_1)
	v_mad_u32 v3, v4, s31, v3
	v_mad_u32 v1, v3, s10, v1
	s_delay_alu instid0(VALU_DEP_1) | instskip(NEXT) | instid1(VALU_DEP_1)
	v_mad_u32 v1, v2, s11, v1
	v_mul_u64_e32 v[0:1], s[8:9], v[0:1]
	s_wait_kmcnt 0x0
	s_delay_alu instid0(VALU_DEP_1) | instskip(NEXT) | instid1(VALU_DEP_1)
	v_lshl_add_u64 v[0:1], v[0:1], 2, s[0:1]
	v_lshl_add_u64 v[0:1], v[6:7], 2, v[0:1]
	global_store_b32 v[0:1], v9, off
.LBB1_50:
	s_endpgm
	.section	.rodata,"a",@progbits
	.p2align	6, 0x0
	.amdhsa_kernel _ZL13conv2d_kernelIf11whcn_layoutEvPKfPKT_Pf11conv_params
		.amdhsa_group_segment_fixed_size 0
		.amdhsa_private_segment_fixed_size 0
		.amdhsa_kernarg_size 408
		.amdhsa_user_sgpr_count 2
		.amdhsa_user_sgpr_dispatch_ptr 0
		.amdhsa_user_sgpr_queue_ptr 0
		.amdhsa_user_sgpr_kernarg_segment_ptr 1
		.amdhsa_user_sgpr_dispatch_id 0
		.amdhsa_user_sgpr_kernarg_preload_length 0
		.amdhsa_user_sgpr_kernarg_preload_offset 0
		.amdhsa_user_sgpr_private_segment_size 0
		.amdhsa_wavefront_size32 1
		.amdhsa_uses_dynamic_stack 0
		.amdhsa_enable_private_segment 0
		.amdhsa_system_sgpr_workgroup_id_x 1
		.amdhsa_system_sgpr_workgroup_id_y 0
		.amdhsa_system_sgpr_workgroup_id_z 0
		.amdhsa_system_sgpr_workgroup_info 0
		.amdhsa_system_vgpr_workitem_id 0
		.amdhsa_next_free_vgpr 42
		.amdhsa_next_free_sgpr 49
		.amdhsa_named_barrier_count 0
		.amdhsa_reserve_vcc 1
		.amdhsa_float_round_mode_32 0
		.amdhsa_float_round_mode_16_64 0
		.amdhsa_float_denorm_mode_32 3
		.amdhsa_float_denorm_mode_16_64 3
		.amdhsa_fp16_overflow 0
		.amdhsa_memory_ordered 1
		.amdhsa_forward_progress 1
		.amdhsa_inst_pref_size 59
		.amdhsa_round_robin_scheduling 0
		.amdhsa_exception_fp_ieee_invalid_op 0
		.amdhsa_exception_fp_denorm_src 0
		.amdhsa_exception_fp_ieee_div_zero 0
		.amdhsa_exception_fp_ieee_overflow 0
		.amdhsa_exception_fp_ieee_underflow 0
		.amdhsa_exception_fp_ieee_inexact 0
		.amdhsa_exception_int_div_zero 0
	.end_amdhsa_kernel
	.section	.text._ZL13conv2d_kernelIf11whcn_layoutEvPKfPKT_Pf11conv_params,"axG",@progbits,_ZL13conv2d_kernelIf11whcn_layoutEvPKfPKT_Pf11conv_params,comdat
.Lfunc_end1:
	.size	_ZL13conv2d_kernelIf11whcn_layoutEvPKfPKT_Pf11conv_params, .Lfunc_end1-_ZL13conv2d_kernelIf11whcn_layoutEvPKfPKT_Pf11conv_params
                                        ; -- End function
	.set _ZL13conv2d_kernelIf11whcn_layoutEvPKfPKT_Pf11conv_params.num_vgpr, 42
	.set _ZL13conv2d_kernelIf11whcn_layoutEvPKfPKT_Pf11conv_params.num_agpr, 0
	.set _ZL13conv2d_kernelIf11whcn_layoutEvPKfPKT_Pf11conv_params.numbered_sgpr, 49
	.set _ZL13conv2d_kernelIf11whcn_layoutEvPKfPKT_Pf11conv_params.num_named_barrier, 0
	.set _ZL13conv2d_kernelIf11whcn_layoutEvPKfPKT_Pf11conv_params.private_seg_size, 0
	.set _ZL13conv2d_kernelIf11whcn_layoutEvPKfPKT_Pf11conv_params.uses_vcc, 1
	.set _ZL13conv2d_kernelIf11whcn_layoutEvPKfPKT_Pf11conv_params.uses_flat_scratch, 0
	.set _ZL13conv2d_kernelIf11whcn_layoutEvPKfPKT_Pf11conv_params.has_dyn_sized_stack, 0
	.set _ZL13conv2d_kernelIf11whcn_layoutEvPKfPKT_Pf11conv_params.has_recursion, 0
	.set _ZL13conv2d_kernelIf11whcn_layoutEvPKfPKT_Pf11conv_params.has_indirect_call, 0
	.section	.AMDGPU.csdata,"",@progbits
; Kernel info:
; codeLenInByte = 7544
; TotalNumSgprs: 51
; NumVgprs: 42
; ScratchSize: 0
; MemoryBound: 0
; FloatMode: 240
; IeeeMode: 1
; LDSByteSize: 0 bytes/workgroup (compile time only)
; SGPRBlocks: 0
; VGPRBlocks: 2
; NumSGPRsForWavesPerEU: 51
; NumVGPRsForWavesPerEU: 42
; NamedBarCnt: 0
; Occupancy: 16
; WaveLimiterHint : 0
; COMPUTE_PGM_RSRC2:SCRATCH_EN: 0
; COMPUTE_PGM_RSRC2:USER_SGPR: 2
; COMPUTE_PGM_RSRC2:TRAP_HANDLER: 0
; COMPUTE_PGM_RSRC2:TGID_X_EN: 1
; COMPUTE_PGM_RSRC2:TGID_Y_EN: 0
; COMPUTE_PGM_RSRC2:TGID_Z_EN: 0
; COMPUTE_PGM_RSRC2:TIDIG_COMP_CNT: 0
	.section	.AMDGPU.gpr_maximums,"",@progbits
	.set amdgpu.max_num_vgpr, 0
	.set amdgpu.max_num_agpr, 0
	.set amdgpu.max_num_sgpr, 0
	.section	.AMDGPU.csdata,"",@progbits
	.type	__hip_cuid_50cb9078f2a3d548,@object ; @__hip_cuid_50cb9078f2a3d548
	.section	.bss,"aw",@nobits
	.globl	__hip_cuid_50cb9078f2a3d548
__hip_cuid_50cb9078f2a3d548:
	.byte	0                               ; 0x0
	.size	__hip_cuid_50cb9078f2a3d548, 1

	.ident	"AMD clang version 22.0.0git (https://github.com/RadeonOpenCompute/llvm-project roc-7.2.4 26084 f58b06dce1f9c15707c5f808fd002e18c2accf7e)"
	.section	".note.GNU-stack","",@progbits
	.addrsig
	.addrsig_sym __hip_cuid_50cb9078f2a3d548
	.amdgpu_metadata
---
amdhsa.kernels:
  - .args:
      - .actual_access:  read_only
        .address_space:  global
        .offset:         0
        .size:           8
        .value_kind:     global_buffer
      - .actual_access:  read_only
        .address_space:  global
        .offset:         8
        .size:           8
        .value_kind:     global_buffer
      - .actual_access:  write_only
        .address_space:  global
        .offset:         16
        .size:           8
        .value_kind:     global_buffer
      - .offset:         24
        .size:           128
        .value_kind:     by_value
      - .offset:         152
        .size:           4
        .value_kind:     hidden_block_count_x
      - .offset:         156
        .size:           4
        .value_kind:     hidden_block_count_y
      - .offset:         160
        .size:           4
        .value_kind:     hidden_block_count_z
      - .offset:         164
        .size:           2
        .value_kind:     hidden_group_size_x
      - .offset:         166
        .size:           2
        .value_kind:     hidden_group_size_y
      - .offset:         168
        .size:           2
        .value_kind:     hidden_group_size_z
      - .offset:         170
        .size:           2
        .value_kind:     hidden_remainder_x
      - .offset:         172
        .size:           2
        .value_kind:     hidden_remainder_y
      - .offset:         174
        .size:           2
        .value_kind:     hidden_remainder_z
      - .offset:         192
        .size:           8
        .value_kind:     hidden_global_offset_x
      - .offset:         200
        .size:           8
        .value_kind:     hidden_global_offset_y
      - .offset:         208
        .size:           8
        .value_kind:     hidden_global_offset_z
      - .offset:         216
        .size:           2
        .value_kind:     hidden_grid_dims
    .group_segment_fixed_size: 0
    .kernarg_segment_align: 8
    .kernarg_segment_size: 408
    .language:       OpenCL C
    .language_version:
      - 2
      - 0
    .max_flat_workgroup_size: 1024
    .name:           _ZL13conv2d_kernelI6__half11whcn_layoutEvPKfPKT_Pf11conv_params
    .private_segment_fixed_size: 0
    .sgpr_count:     51
    .sgpr_spill_count: 0
    .symbol:         _ZL13conv2d_kernelI6__half11whcn_layoutEvPKfPKT_Pf11conv_params.kd
    .uniform_work_group_size: 1
    .uses_dynamic_stack: false
    .vgpr_count:     42
    .vgpr_spill_count: 0
    .wavefront_size: 32
  - .args:
      - .actual_access:  read_only
        .address_space:  global
        .offset:         0
        .size:           8
        .value_kind:     global_buffer
      - .actual_access:  read_only
        .address_space:  global
        .offset:         8
        .size:           8
        .value_kind:     global_buffer
      - .actual_access:  write_only
        .address_space:  global
        .offset:         16
        .size:           8
        .value_kind:     global_buffer
      - .offset:         24
        .size:           128
        .value_kind:     by_value
      - .offset:         152
        .size:           4
        .value_kind:     hidden_block_count_x
      - .offset:         156
        .size:           4
        .value_kind:     hidden_block_count_y
      - .offset:         160
        .size:           4
        .value_kind:     hidden_block_count_z
      - .offset:         164
        .size:           2
        .value_kind:     hidden_group_size_x
      - .offset:         166
        .size:           2
        .value_kind:     hidden_group_size_y
      - .offset:         168
        .size:           2
        .value_kind:     hidden_group_size_z
      - .offset:         170
        .size:           2
        .value_kind:     hidden_remainder_x
      - .offset:         172
        .size:           2
        .value_kind:     hidden_remainder_y
      - .offset:         174
        .size:           2
        .value_kind:     hidden_remainder_z
      - .offset:         192
        .size:           8
        .value_kind:     hidden_global_offset_x
      - .offset:         200
        .size:           8
        .value_kind:     hidden_global_offset_y
      - .offset:         208
        .size:           8
        .value_kind:     hidden_global_offset_z
      - .offset:         216
        .size:           2
        .value_kind:     hidden_grid_dims
    .group_segment_fixed_size: 0
    .kernarg_segment_align: 8
    .kernarg_segment_size: 408
    .language:       OpenCL C
    .language_version:
      - 2
      - 0
    .max_flat_workgroup_size: 1024
    .name:           _ZL13conv2d_kernelIf11whcn_layoutEvPKfPKT_Pf11conv_params
    .private_segment_fixed_size: 0
    .sgpr_count:     51
    .sgpr_spill_count: 0
    .symbol:         _ZL13conv2d_kernelIf11whcn_layoutEvPKfPKT_Pf11conv_params.kd
    .uniform_work_group_size: 1
    .uses_dynamic_stack: false
    .vgpr_count:     42
    .vgpr_spill_count: 0
    .wavefront_size: 32
amdhsa.target:   amdgcn-amd-amdhsa--gfx1250
amdhsa.version:
  - 1
  - 2
...

	.end_amdgpu_metadata
